;; amdgpu-corpus repo=ROCm/rocFFT kind=compiled arch=gfx1201 opt=O3
	.text
	.amdgcn_target "amdgcn-amd-amdhsa--gfx1201"
	.amdhsa_code_object_version 6
	.protected	fft_rtc_back_len2880_factors_10_6_6_2_2_2_wgs_96_tpt_96_halfLds_dp_ip_CI_sbrr_dirReg ; -- Begin function fft_rtc_back_len2880_factors_10_6_6_2_2_2_wgs_96_tpt_96_halfLds_dp_ip_CI_sbrr_dirReg
	.globl	fft_rtc_back_len2880_factors_10_6_6_2_2_2_wgs_96_tpt_96_halfLds_dp_ip_CI_sbrr_dirReg
	.p2align	8
	.type	fft_rtc_back_len2880_factors_10_6_6_2_2_2_wgs_96_tpt_96_halfLds_dp_ip_CI_sbrr_dirReg,@function
fft_rtc_back_len2880_factors_10_6_6_2_2_2_wgs_96_tpt_96_halfLds_dp_ip_CI_sbrr_dirReg: ; @fft_rtc_back_len2880_factors_10_6_6_2_2_2_wgs_96_tpt_96_halfLds_dp_ip_CI_sbrr_dirReg
; %bb.0:
	s_clause 0x2
	s_load_b64 s[12:13], s[0:1], 0x18
	s_load_b128 s[4:7], s[0:1], 0x0
	s_load_b64 s[10:11], s[0:1], 0x50
	v_mul_u32_u24_e32 v1, 0x2ab, v0
	v_mov_b32_e32 v3, 0
	s_delay_alu instid0(VALU_DEP_2) | instskip(NEXT) | instid1(VALU_DEP_1)
	v_lshrrev_b32_e32 v1, 16, v1
	v_add_nc_u32_e32 v5, ttmp9, v1
	v_mov_b32_e32 v1, 0
	v_mov_b32_e32 v2, 0
	;; [unrolled: 1-line block ×3, first 2 shown]
	s_wait_kmcnt 0x0
	s_load_b64 s[8:9], s[12:13], 0x0
	v_cmp_lt_u64_e64 s2, s[6:7], 2
	s_delay_alu instid0(VALU_DEP_1)
	s_and_b32 vcc_lo, exec_lo, s2
	s_cbranch_vccnz .LBB0_8
; %bb.1:
	s_load_b64 s[2:3], s[0:1], 0x10
	v_mov_b32_e32 v1, 0
	v_mov_b32_e32 v2, 0
	s_add_nc_u64 s[14:15], s[12:13], 8
	s_mov_b64 s[16:17], 1
	s_wait_kmcnt 0x0
	s_add_nc_u64 s[18:19], s[2:3], 8
	s_mov_b32 s3, 0
.LBB0_2:                                ; =>This Inner Loop Header: Depth=1
	s_load_b64 s[20:21], s[18:19], 0x0
                                        ; implicit-def: $vgpr7_vgpr8
	s_mov_b32 s2, exec_lo
	s_wait_kmcnt 0x0
	v_or_b32_e32 v4, s21, v6
	s_delay_alu instid0(VALU_DEP_1)
	v_cmpx_ne_u64_e32 0, v[3:4]
	s_wait_alu 0xfffe
	s_xor_b32 s22, exec_lo, s2
	s_cbranch_execz .LBB0_4
; %bb.3:                                ;   in Loop: Header=BB0_2 Depth=1
	s_cvt_f32_u32 s2, s20
	s_cvt_f32_u32 s23, s21
	s_sub_nc_u64 s[26:27], 0, s[20:21]
	s_wait_alu 0xfffe
	s_delay_alu instid0(SALU_CYCLE_1) | instskip(SKIP_1) | instid1(SALU_CYCLE_2)
	s_fmamk_f32 s2, s23, 0x4f800000, s2
	s_wait_alu 0xfffe
	v_s_rcp_f32 s2, s2
	s_delay_alu instid0(TRANS32_DEP_1) | instskip(SKIP_1) | instid1(SALU_CYCLE_2)
	s_mul_f32 s2, s2, 0x5f7ffffc
	s_wait_alu 0xfffe
	s_mul_f32 s23, s2, 0x2f800000
	s_wait_alu 0xfffe
	s_delay_alu instid0(SALU_CYCLE_2) | instskip(SKIP_1) | instid1(SALU_CYCLE_2)
	s_trunc_f32 s23, s23
	s_wait_alu 0xfffe
	s_fmamk_f32 s2, s23, 0xcf800000, s2
	s_cvt_u32_f32 s25, s23
	s_wait_alu 0xfffe
	s_delay_alu instid0(SALU_CYCLE_1) | instskip(SKIP_1) | instid1(SALU_CYCLE_2)
	s_cvt_u32_f32 s24, s2
	s_wait_alu 0xfffe
	s_mul_u64 s[28:29], s[26:27], s[24:25]
	s_wait_alu 0xfffe
	s_mul_hi_u32 s31, s24, s29
	s_mul_i32 s30, s24, s29
	s_mul_hi_u32 s2, s24, s28
	s_mul_i32 s33, s25, s28
	s_wait_alu 0xfffe
	s_add_nc_u64 s[30:31], s[2:3], s[30:31]
	s_mul_hi_u32 s23, s25, s28
	s_mul_hi_u32 s34, s25, s29
	s_add_co_u32 s2, s30, s33
	s_wait_alu 0xfffe
	s_add_co_ci_u32 s2, s31, s23
	s_mul_i32 s28, s25, s29
	s_add_co_ci_u32 s29, s34, 0
	s_wait_alu 0xfffe
	s_add_nc_u64 s[28:29], s[2:3], s[28:29]
	s_wait_alu 0xfffe
	v_add_co_u32 v4, s2, s24, s28
	s_delay_alu instid0(VALU_DEP_1) | instskip(SKIP_1) | instid1(VALU_DEP_1)
	s_cmp_lg_u32 s2, 0
	s_add_co_ci_u32 s25, s25, s29
	v_readfirstlane_b32 s24, v4
	s_wait_alu 0xfffe
	s_delay_alu instid0(VALU_DEP_1)
	s_mul_u64 s[26:27], s[26:27], s[24:25]
	s_wait_alu 0xfffe
	s_mul_hi_u32 s29, s24, s27
	s_mul_i32 s28, s24, s27
	s_mul_hi_u32 s2, s24, s26
	s_mul_i32 s30, s25, s26
	s_wait_alu 0xfffe
	s_add_nc_u64 s[28:29], s[2:3], s[28:29]
	s_mul_hi_u32 s23, s25, s26
	s_mul_hi_u32 s24, s25, s27
	s_wait_alu 0xfffe
	s_add_co_u32 s2, s28, s30
	s_add_co_ci_u32 s2, s29, s23
	s_mul_i32 s26, s25, s27
	s_add_co_ci_u32 s27, s24, 0
	s_wait_alu 0xfffe
	s_add_nc_u64 s[26:27], s[2:3], s[26:27]
	s_wait_alu 0xfffe
	v_add_co_u32 v4, s2, v4, s26
	s_delay_alu instid0(VALU_DEP_1) | instskip(SKIP_1) | instid1(VALU_DEP_1)
	s_cmp_lg_u32 s2, 0
	s_add_co_ci_u32 s2, s25, s27
	v_mul_hi_u32 v13, v5, v4
	s_wait_alu 0xfffe
	v_mad_co_u64_u32 v[7:8], null, v5, s2, 0
	v_mad_co_u64_u32 v[9:10], null, v6, v4, 0
	;; [unrolled: 1-line block ×3, first 2 shown]
	s_delay_alu instid0(VALU_DEP_3) | instskip(SKIP_1) | instid1(VALU_DEP_4)
	v_add_co_u32 v4, vcc_lo, v13, v7
	s_wait_alu 0xfffd
	v_add_co_ci_u32_e32 v7, vcc_lo, 0, v8, vcc_lo
	s_delay_alu instid0(VALU_DEP_2) | instskip(SKIP_1) | instid1(VALU_DEP_2)
	v_add_co_u32 v4, vcc_lo, v4, v9
	s_wait_alu 0xfffd
	v_add_co_ci_u32_e32 v4, vcc_lo, v7, v10, vcc_lo
	s_wait_alu 0xfffd
	v_add_co_ci_u32_e32 v7, vcc_lo, 0, v12, vcc_lo
	s_delay_alu instid0(VALU_DEP_2) | instskip(SKIP_1) | instid1(VALU_DEP_2)
	v_add_co_u32 v4, vcc_lo, v4, v11
	s_wait_alu 0xfffd
	v_add_co_ci_u32_e32 v9, vcc_lo, 0, v7, vcc_lo
	s_delay_alu instid0(VALU_DEP_2) | instskip(SKIP_1) | instid1(VALU_DEP_3)
	v_mul_lo_u32 v10, s21, v4
	v_mad_co_u64_u32 v[7:8], null, s20, v4, 0
	v_mul_lo_u32 v11, s20, v9
	s_delay_alu instid0(VALU_DEP_2) | instskip(NEXT) | instid1(VALU_DEP_2)
	v_sub_co_u32 v7, vcc_lo, v5, v7
	v_add3_u32 v8, v8, v11, v10
	s_delay_alu instid0(VALU_DEP_1) | instskip(SKIP_1) | instid1(VALU_DEP_1)
	v_sub_nc_u32_e32 v10, v6, v8
	s_wait_alu 0xfffd
	v_subrev_co_ci_u32_e64 v10, s2, s21, v10, vcc_lo
	v_add_co_u32 v11, s2, v4, 2
	s_wait_alu 0xf1ff
	v_add_co_ci_u32_e64 v12, s2, 0, v9, s2
	v_sub_co_u32 v13, s2, v7, s20
	v_sub_co_ci_u32_e32 v8, vcc_lo, v6, v8, vcc_lo
	s_wait_alu 0xf1ff
	v_subrev_co_ci_u32_e64 v10, s2, 0, v10, s2
	s_delay_alu instid0(VALU_DEP_3) | instskip(NEXT) | instid1(VALU_DEP_3)
	v_cmp_le_u32_e32 vcc_lo, s20, v13
	v_cmp_eq_u32_e64 s2, s21, v8
	s_wait_alu 0xfffd
	v_cndmask_b32_e64 v13, 0, -1, vcc_lo
	v_cmp_le_u32_e32 vcc_lo, s21, v10
	s_wait_alu 0xfffd
	v_cndmask_b32_e64 v14, 0, -1, vcc_lo
	v_cmp_le_u32_e32 vcc_lo, s20, v7
	;; [unrolled: 3-line block ×3, first 2 shown]
	s_wait_alu 0xfffd
	v_cndmask_b32_e64 v15, 0, -1, vcc_lo
	v_cmp_eq_u32_e32 vcc_lo, s21, v10
	s_wait_alu 0xf1ff
	s_delay_alu instid0(VALU_DEP_2)
	v_cndmask_b32_e64 v7, v15, v7, s2
	s_wait_alu 0xfffd
	v_cndmask_b32_e32 v10, v14, v13, vcc_lo
	v_add_co_u32 v13, vcc_lo, v4, 1
	s_wait_alu 0xfffd
	v_add_co_ci_u32_e32 v14, vcc_lo, 0, v9, vcc_lo
	s_delay_alu instid0(VALU_DEP_3) | instskip(SKIP_2) | instid1(VALU_DEP_3)
	v_cmp_ne_u32_e32 vcc_lo, 0, v10
	s_wait_alu 0xfffd
	v_cndmask_b32_e32 v10, v13, v11, vcc_lo
	v_cndmask_b32_e32 v8, v14, v12, vcc_lo
	v_cmp_ne_u32_e32 vcc_lo, 0, v7
	s_wait_alu 0xfffd
	s_delay_alu instid0(VALU_DEP_2)
	v_dual_cndmask_b32 v7, v4, v10 :: v_dual_cndmask_b32 v8, v9, v8
.LBB0_4:                                ;   in Loop: Header=BB0_2 Depth=1
	s_wait_alu 0xfffe
	s_and_not1_saveexec_b32 s2, s22
	s_cbranch_execz .LBB0_6
; %bb.5:                                ;   in Loop: Header=BB0_2 Depth=1
	v_cvt_f32_u32_e32 v4, s20
	s_sub_co_i32 s22, 0, s20
	s_delay_alu instid0(VALU_DEP_1) | instskip(NEXT) | instid1(TRANS32_DEP_1)
	v_rcp_iflag_f32_e32 v4, v4
	v_mul_f32_e32 v4, 0x4f7ffffe, v4
	s_delay_alu instid0(VALU_DEP_1) | instskip(SKIP_1) | instid1(VALU_DEP_1)
	v_cvt_u32_f32_e32 v4, v4
	s_wait_alu 0xfffe
	v_mul_lo_u32 v7, s22, v4
	s_delay_alu instid0(VALU_DEP_1) | instskip(NEXT) | instid1(VALU_DEP_1)
	v_mul_hi_u32 v7, v4, v7
	v_add_nc_u32_e32 v4, v4, v7
	s_delay_alu instid0(VALU_DEP_1) | instskip(NEXT) | instid1(VALU_DEP_1)
	v_mul_hi_u32 v4, v5, v4
	v_mul_lo_u32 v7, v4, s20
	v_add_nc_u32_e32 v8, 1, v4
	s_delay_alu instid0(VALU_DEP_2) | instskip(NEXT) | instid1(VALU_DEP_1)
	v_sub_nc_u32_e32 v7, v5, v7
	v_subrev_nc_u32_e32 v9, s20, v7
	v_cmp_le_u32_e32 vcc_lo, s20, v7
	s_wait_alu 0xfffd
	s_delay_alu instid0(VALU_DEP_2) | instskip(NEXT) | instid1(VALU_DEP_1)
	v_dual_cndmask_b32 v7, v7, v9 :: v_dual_cndmask_b32 v4, v4, v8
	v_cmp_le_u32_e32 vcc_lo, s20, v7
	s_delay_alu instid0(VALU_DEP_2) | instskip(SKIP_1) | instid1(VALU_DEP_1)
	v_add_nc_u32_e32 v8, 1, v4
	s_wait_alu 0xfffd
	v_dual_cndmask_b32 v7, v4, v8 :: v_dual_mov_b32 v8, v3
.LBB0_6:                                ;   in Loop: Header=BB0_2 Depth=1
	s_wait_alu 0xfffe
	s_or_b32 exec_lo, exec_lo, s2
	s_load_b64 s[22:23], s[14:15], 0x0
	s_delay_alu instid0(VALU_DEP_1)
	v_mul_lo_u32 v4, v8, s20
	v_mul_lo_u32 v11, v7, s21
	v_mad_co_u64_u32 v[9:10], null, v7, s20, 0
	s_add_nc_u64 s[16:17], s[16:17], 1
	s_add_nc_u64 s[14:15], s[14:15], 8
	s_wait_alu 0xfffe
	v_cmp_ge_u64_e64 s2, s[16:17], s[6:7]
	s_add_nc_u64 s[18:19], s[18:19], 8
	s_delay_alu instid0(VALU_DEP_2) | instskip(NEXT) | instid1(VALU_DEP_3)
	v_add3_u32 v4, v10, v11, v4
	v_sub_co_u32 v5, vcc_lo, v5, v9
	s_wait_alu 0xfffd
	s_delay_alu instid0(VALU_DEP_2) | instskip(SKIP_3) | instid1(VALU_DEP_2)
	v_sub_co_ci_u32_e32 v4, vcc_lo, v6, v4, vcc_lo
	s_and_b32 vcc_lo, exec_lo, s2
	s_wait_kmcnt 0x0
	v_mul_lo_u32 v6, s23, v5
	v_mul_lo_u32 v4, s22, v4
	v_mad_co_u64_u32 v[1:2], null, s22, v5, v[1:2]
	s_delay_alu instid0(VALU_DEP_1)
	v_add3_u32 v2, v6, v2, v4
	s_wait_alu 0xfffe
	s_cbranch_vccnz .LBB0_9
; %bb.7:                                ;   in Loop: Header=BB0_2 Depth=1
	v_dual_mov_b32 v5, v7 :: v_dual_mov_b32 v6, v8
	s_branch .LBB0_2
.LBB0_8:
	v_dual_mov_b32 v8, v6 :: v_dual_mov_b32 v7, v5
.LBB0_9:
	s_lshl_b64 s[2:3], s[6:7], 3
	v_mul_hi_u32 v3, 0x2aaaaab, v0
	s_wait_alu 0xfffe
	s_add_nc_u64 s[2:3], s[12:13], s[2:3]
	s_load_b64 s[0:1], s[0:1], 0x20
	s_load_b64 s[2:3], s[2:3], 0x0
                                        ; implicit-def: $vgpr150
                                        ; implicit-def: $vgpr148
                                        ; implicit-def: $vgpr185
                                        ; implicit-def: $vgpr154
                                        ; implicit-def: $vgpr175
                                        ; implicit-def: $vgpr183
                                        ; implicit-def: $vgpr181
                                        ; implicit-def: $vgpr156
                                        ; implicit-def: $vgpr158
                                        ; implicit-def: $vgpr166
                                        ; implicit-def: $vgpr152
                                        ; implicit-def: $vgpr160
                                        ; implicit-def: $vgpr162
                                        ; implicit-def: $vgpr164
                                        ; implicit-def: $vgpr179_vgpr180
                                        ; implicit-def: $vgpr177_vgpr178
                                        ; implicit-def: $vgpr173_vgpr174
                                        ; implicit-def: $vgpr171_vgpr172
                                        ; implicit-def: $vgpr169_vgpr170
                                        ; implicit-def: $vgpr167_vgpr168
	s_delay_alu instid0(VALU_DEP_1) | instskip(NEXT) | instid1(VALU_DEP_1)
	v_mul_u32_u24_e32 v3, 0x60, v3
	v_sub_nc_u32_e32 v144, v0, v3
	s_delay_alu instid0(VALU_DEP_1)
	v_add_nc_u32_e32 v142, 0x60, v144
	v_add_nc_u32_e32 v136, 0xc0, v144
	;; [unrolled: 1-line block ×4, first 2 shown]
	s_wait_kmcnt 0x0
	v_cmp_gt_u64_e32 vcc_lo, s[0:1], v[7:8]
	v_mul_lo_u32 v3, s2, v8
	v_mul_lo_u32 v4, s3, v7
	v_mad_co_u64_u32 v[0:1], null, s2, v7, v[1:2]
	v_cmp_le_u64_e64 s0, s[0:1], v[7:8]
	v_add_nc_u32_e32 v140, 0x120, v144
	v_or_b32_e32 v138, 0x180, v144
	v_add_nc_u32_e32 v134, 0x240, v144
	v_add_nc_u32_e32 v210, 0x2a0, v144
	v_or_b32_e32 v211, 0x300, v144
	v_add_nc_u32_e32 v209, 0x360, v144
	;; [unrolled: 3-line block ×3, first 2 shown]
	v_add3_u32 v1, v4, v1, v3
	v_add_nc_u32_e32 v204, 0x540, v144
	s_and_saveexec_b32 s1, s0
	s_wait_alu 0xfffe
	s_xor_b32 s0, exec_lo, s1
	s_cbranch_execz .LBB0_11
; %bb.10:
	v_dual_mov_b32 v145, 0 :: v_dual_add_nc_u32 v150, 0x60, v144
	v_add_nc_u32_e32 v148, 0xc0, v144
	v_add_nc_u32_e32 v185, 0x1e0, v144
	;; [unrolled: 1-line block ×3, first 2 shown]
	s_delay_alu instid0(VALU_DEP_4)
	v_dual_mov_b32 v184, v145 :: v_dual_add_nc_u32 v175, 0x120, v144
	v_or_b32_e32 v183, 0x180, v144
	v_dual_mov_b32 v186, v145 :: v_dual_add_nc_u32 v181, 0x240, v144
	v_mov_b32_e32 v151, v145
	v_dual_mov_b32 v149, v145 :: v_dual_mov_b32 v176, v145
	v_mov_b32_e32 v182, v145
	v_dual_mov_b32 v173, v175 :: v_dual_add_nc_u32 v152, 0x420, v144
	v_dual_mov_b32 v171, v183 :: v_dual_add_nc_u32 v162, 0x4e0, v144
	;; [unrolled: 1-line block ×3, first 2 shown]
	v_dual_mov_b32 v180, v151 :: v_dual_mov_b32 v167, v181
	v_mov_b32_e32 v178, v149
	v_dual_mov_b32 v179, v150 :: v_dual_add_nc_u32 v156, 0x2a0, v144
	v_or_b32_e32 v158, 0x300, v144
	v_dual_mov_b32 v177, v148 :: v_dual_add_nc_u32 v166, 0x360, v144
	v_or_b32_e32 v160, 0x480, v144
	v_mov_b32_e32 v174, v176
	v_mov_b32_e32 v172, v184
	;; [unrolled: 1-line block ×4, first 2 shown]
.LBB0_11:
	s_wait_alu 0xfffe
	s_or_saveexec_b32 s1, s0
	v_lshlrev_b64_e32 v[0:1], 4, v[0:1]
	v_add_nc_u32_e32 v184, 0x5a0, v144
	v_add_nc_u32_e32 v176, 0x6c0, v144
	v_or_b32_e32 v216, 0x600, v144
	v_add_nc_u32_e32 v182, 0x720, v144
	v_add_nc_u32_e32 v255, 0x840, v144
	scratch_store_b64 off, v[0:1], off      ; 8-byte Folded Spill
	v_add_nc_u32_e32 v0, 0x7e0, v144
                                        ; implicit-def: $vgpr10_vgpr11
                                        ; implicit-def: $vgpr2_vgpr3
                                        ; implicit-def: $vgpr26_vgpr27
                                        ; implicit-def: $vgpr6_vgpr7
                                        ; implicit-def: $vgpr54_vgpr55
                                        ; implicit-def: $vgpr14_vgpr15
                                        ; implicit-def: $vgpr66_vgpr67
                                        ; implicit-def: $vgpr18_vgpr19
                                        ; implicit-def: $vgpr70_vgpr71
                                        ; implicit-def: $vgpr22_vgpr23
                                        ; implicit-def: $vgpr30_vgpr31
                                        ; implicit-def: $vgpr34_vgpr35
                                        ; implicit-def: $vgpr58_vgpr59
                                        ; implicit-def: $vgpr38_vgpr39
                                        ; implicit-def: $vgpr62_vgpr63
                                        ; implicit-def: $vgpr42_vgpr43
                                        ; implicit-def: $vgpr74_vgpr75
                                        ; implicit-def: $vgpr46_vgpr47
                                        ; implicit-def: $vgpr78_vgpr79
                                        ; implicit-def: $vgpr50_vgpr51
                                        ; implicit-def: $vgpr106_vgpr107
                                        ; implicit-def: $vgpr114_vgpr115
                                        ; implicit-def: $vgpr110_vgpr111
                                        ; implicit-def: $vgpr118_vgpr119
                                        ; implicit-def: $vgpr90_vgpr91
                                        ; implicit-def: $vgpr98_vgpr99
                                        ; implicit-def: $vgpr86_vgpr87
                                        ; implicit-def: $vgpr102_vgpr103
                                        ; implicit-def: $vgpr82_vgpr83
                                        ; implicit-def: $vgpr94_vgpr95
	scratch_store_b32 off, v0, off offset:16 ; 4-byte Folded Spill
	v_or_b32_e32 v0, 0x900, v144
	scratch_store_b32 off, v0, off offset:12 ; 4-byte Folded Spill
	v_add_nc_u32_e32 v0, 0xa20, v144
	scratch_store_b32 off, v0, off offset:8 ; 4-byte Folded Spill
	s_wait_alu 0xfffe
	s_xor_b32 exec_lo, exec_lo, s1
	s_cbranch_execz .LBB0_13
; %bb.12:
	v_mad_co_u64_u32 v[0:1], null, s8, v144, 0
	v_mad_co_u64_u32 v[2:3], null, s8, v140, 0
	;; [unrolled: 1-line block ×5, first 2 shown]
	s_delay_alu instid0(VALU_DEP_4) | instskip(SKIP_3) | instid1(VALU_DEP_3)
	v_mad_co_u64_u32 v[4:5], null, s9, v144, v[1:2]
	v_mov_b32_e32 v1, v3
	v_mad_co_u64_u32 v[14:15], null, s8, v184, 0
	v_mad_co_u64_u32 v[24:25], null, s8, v182, 0
	;; [unrolled: 1-line block ×3, first 2 shown]
	v_mov_b32_e32 v1, v4
	scratch_load_b64 v[3:4], off, off       ; 8-byte Folded Reload
	v_or_b32_e32 v34, 0xa80, v144
	v_mad_co_u64_u32 v[39:40], null, s8, v208, 0
	v_lshlrev_b64_e32 v[0:1], 4, v[0:1]
	v_add_nc_u32_e32 v43, 0x660, v144
	v_or_b32_e32 v44, 0x780, v144
	v_dual_mov_b32 v145, 0 :: v_dual_mov_b32 v152, v208
	v_mov_b32_e32 v158, v211
	v_mov_b32_e32 v156, v210
	s_delay_alu instid0(VALU_DEP_3)
	v_dual_mov_b32 v154, v207 :: v_dual_mov_b32 v135, v145
	v_mov_b32_e32 v133, v145
	v_mov_b32_e32 v139, v145
	v_dual_mov_b32 v141, v145 :: v_dual_mov_b32 v166, v209
	v_dual_mov_b32 v137, v145 :: v_dual_mov_b32 v150, v142
	;; [unrolled: 1-line block ×3, first 2 shown]
	v_mov_b32_e32 v181, v134
	v_mov_b32_e32 v183, v138
	;; [unrolled: 1-line block ×3, first 2 shown]
	v_dual_mov_b32 v185, v132 :: v_dual_add_nc_u32 v32, 0x960, v144
	v_dual_mov_b32 v172, v139 :: v_dual_mov_b32 v171, v138
	v_mov_b32_e32 v168, v135
	v_mov_b32_e32 v170, v133
	s_delay_alu instid0(VALU_DEP_4)
	v_mad_co_u64_u32 v[28:29], null, s8, v32, 0
	v_mov_b32_e32 v167, v134
	v_dual_mov_b32 v169, v132 :: v_dual_mov_b32 v178, v137
	v_dual_mov_b32 v177, v136 :: v_dual_mov_b32 v174, v141
	;; [unrolled: 1-line block ×4, first 2 shown]
	v_mov_b32_e32 v162, v205
	v_mov_b32_e32 v160, v206
	s_wait_loadcnt 0x0
	v_add_co_u32 v6, s0, s10, v3
	s_wait_alu 0xf1ff
	v_add_co_ci_u32_e64 v7, s0, s11, v4, s0
	v_dual_mov_b32 v4, v9 :: v_dual_mov_b32 v3, v5
	s_delay_alu instid0(VALU_DEP_3) | instskip(SKIP_1) | instid1(VALU_DEP_3)
	v_add_co_u32 v0, s0, v6, v0
	s_wait_alu 0xf1ff
	v_add_co_ci_u32_e64 v1, s0, v7, v1, s0
	s_delay_alu instid0(VALU_DEP_3) | instskip(SKIP_2) | instid1(VALU_DEP_2)
	v_mad_co_u64_u32 v[4:5], null, s9, v134, v[4:5]
	v_lshlrev_b64_e32 v[2:3], 4, v[2:3]
	v_mov_b32_e32 v5, v11
	v_add_co_u32 v2, s0, v6, v2
	s_delay_alu instid0(VALU_DEP_4) | instskip(SKIP_1) | instid1(VALU_DEP_4)
	v_mov_b32_e32 v9, v4
	s_wait_alu 0xf1ff
	v_add_co_ci_u32_e64 v3, s0, v7, v3, s0
	s_clause 0x1
	global_load_b128 v[92:95], v[0:1], off
	global_load_b128 v[80:83], v[2:3], off
	v_lshlrev_b64_e32 v[1:2], 4, v[8:9]
	v_mov_b32_e32 v0, v13
	v_mad_co_u64_u32 v[16:17], null, s9, v209, v[5:6]
	v_mov_b32_e32 v3, v15
	s_delay_alu instid0(VALU_DEP_3) | instskip(SKIP_1) | instid1(VALU_DEP_4)
	v_mad_co_u64_u32 v[4:5], null, s9, v206, v[0:1]
	v_add_co_u32 v0, s0, v6, v1
	v_mov_b32_e32 v11, v16
	v_mad_co_u64_u32 v[16:17], null, s8, v176, 0
	s_wait_alu 0xf1ff
	v_add_co_ci_u32_e64 v1, s0, v7, v2, s0
	v_mad_co_u64_u32 v[8:9], null, s9, v184, v[3:4]
	v_lshlrev_b64_e32 v[9:10], 4, v[10:11]
	s_delay_alu instid0(VALU_DEP_4) | instskip(SKIP_1) | instid1(VALU_DEP_4)
	v_dual_mov_b32 v13, v4 :: v_dual_mov_b32 v2, v17
	v_or_b32_e32 v5, 0x900, v144
	v_mov_b32_e32 v15, v8
	s_delay_alu instid0(VALU_DEP_4) | instskip(SKIP_2) | instid1(VALU_DEP_3)
	v_add_co_u32 v3, s0, v6, v9
	s_wait_alu 0xf1ff
	v_add_co_ci_u32_e64 v4, s0, v7, v10, s0
	v_lshlrev_b64_e32 v[10:11], 4, v[14:15]
	v_add_nc_u32_e32 v15, 0x7e0, v144
	v_lshlrev_b64_e32 v[8:9], 4, v[12:13]
	v_mad_co_u64_u32 v[12:13], null, s9, v176, v[2:3]
	v_mad_co_u64_u32 v[18:19], null, s8, v5, 0
	s_delay_alu instid0(VALU_DEP_4) | instskip(NEXT) | instid1(VALU_DEP_4)
	v_mad_co_u64_u32 v[13:14], null, s8, v15, 0
	v_add_co_u32 v8, s0, v6, v8
	s_wait_alu 0xf1ff
	v_add_co_ci_u32_e64 v9, s0, v7, v9, s0
	v_dual_mov_b32 v17, v12 :: v_dual_add_nc_u32 v12, 0xa20, v144
	s_delay_alu instid0(VALU_DEP_4) | instskip(SKIP_3) | instid1(VALU_DEP_3)
	v_mov_b32_e32 v2, v14
	v_add_co_u32 v10, s0, v6, v10
	s_wait_alu 0xf1ff
	v_add_co_ci_u32_e64 v11, s0, v7, v11, s0
	v_mad_co_u64_u32 v[14:15], null, s9, v15, v[2:3]
	s_clause 0x3
	global_load_b128 v[100:103], v[0:1], off
	global_load_b128 v[84:87], v[3:4], off
	;; [unrolled: 1-line block ×4, first 2 shown]
	v_mad_co_u64_u32 v[8:9], null, s8, v12, 0
	v_mov_b32_e32 v2, v19
	v_mad_co_u64_u32 v[10:11], null, s8, v142, 0
	v_lshlrev_b64_e32 v[0:1], 4, v[16:17]
	s_delay_alu instid0(VALU_DEP_3) | instskip(SKIP_2) | instid1(VALU_DEP_4)
	v_mad_co_u64_u32 v[2:3], null, s9, v5, v[2:3]
	v_lshlrev_b64_e32 v[4:5], 4, v[13:14]
	v_mov_b32_e32 v3, v9
	v_add_co_u32 v0, s0, v6, v0
	s_wait_alu 0xf1ff
	v_add_co_ci_u32_e64 v1, s0, v7, v1, s0
	s_delay_alu instid0(VALU_DEP_3) | instskip(SKIP_4) | instid1(VALU_DEP_3)
	v_mad_co_u64_u32 v[12:13], null, s9, v12, v[3:4]
	v_mov_b32_e32 v19, v2
	v_add_co_u32 v2, s0, v6, v4
	s_wait_alu 0xf1ff
	v_add_co_ci_u32_e64 v3, s0, v7, v5, s0
	v_lshlrev_b64_e32 v[4:5], 4, v[18:19]
	v_mov_b32_e32 v9, v12
	v_mad_co_u64_u32 v[12:13], null, s8, v138, 0
	v_mad_co_u64_u32 v[17:18], null, s8, v207, 0
	s_delay_alu instid0(VALU_DEP_3)
	v_lshlrev_b64_e32 v[8:9], 4, v[8:9]
	v_add_co_u32 v4, s0, v6, v4
	s_wait_alu 0xf1ff
	v_add_co_ci_u32_e64 v5, s0, v7, v5, s0
	v_mad_co_u64_u32 v[14:15], null, s9, v142, v[11:12]
	v_mad_co_u64_u32 v[15:16], null, s8, v210, 0
	v_add_co_u32 v8, s0, v6, v8
	s_wait_alu 0xf1ff
	v_add_co_ci_u32_e64 v9, s0, v7, v9, s0
	s_delay_alu instid0(VALU_DEP_4)
	v_mov_b32_e32 v11, v14
	v_mad_co_u64_u32 v[13:14], null, s9, v138, v[13:14]
	v_mov_b32_e32 v14, v16
	s_clause 0x1
	global_load_b128 v[116:119], v[0:1], off
	global_load_b128 v[108:111], v[2:3], off
	v_lshlrev_b64_e32 v[10:11], 4, v[10:11]
	s_clause 0x1
	global_load_b128 v[112:115], v[4:5], off
	global_load_b128 v[104:107], v[8:9], off
	v_mad_co_u64_u32 v[19:20], null, s9, v210, v[14:15]
	v_mov_b32_e32 v14, v18
	v_lshlrev_b64_e32 v[12:13], 4, v[12:13]
	v_add_co_u32 v10, s0, v6, v10
	s_wait_alu 0xf1ff
	v_add_co_ci_u32_e64 v11, s0, v7, v11, s0
	v_mov_b32_e32 v16, v19
	v_mad_co_u64_u32 v[19:20], null, s8, v205, 0
	v_mad_co_u64_u32 v[21:22], null, s9, v207, v[14:15]
	;; [unrolled: 1-line block ×3, first 2 shown]
	s_delay_alu instid0(VALU_DEP_4)
	v_lshlrev_b64_e32 v[14:15], 4, v[15:16]
	v_add_co_u32 v12, s0, v6, v12
	v_mov_b32_e32 v16, v20
	v_mov_b32_e32 v18, v21
	s_wait_alu 0xf1ff
	v_add_co_ci_u32_e64 v13, s0, v7, v13, s0
	v_add_co_u32 v14, s0, v6, v14
	v_mad_co_u64_u32 v[20:21], null, s9, v205, v[16:17]
	v_lshlrev_b64_e32 v[17:18], 4, v[17:18]
	v_mov_b32_e32 v16, v23
	s_wait_alu 0xf1ff
	v_add_co_ci_u32_e64 v15, s0, v7, v15, s0
	s_delay_alu instid0(VALU_DEP_2) | instskip(SKIP_4) | instid1(VALU_DEP_4)
	v_mad_co_u64_u32 v[26:27], null, s9, v216, v[16:17]
	v_add_co_u32 v16, s0, v6, v17
	s_wait_alu 0xf1ff
	v_add_co_ci_u32_e64 v17, s0, v7, v18, s0
	v_lshlrev_b64_e32 v[18:19], 4, v[19:20]
	v_dual_mov_b32 v20, v25 :: v_dual_mov_b32 v23, v26
	v_mad_co_u64_u32 v[26:27], null, s8, v255, 0
	s_delay_alu instid0(VALU_DEP_2) | instskip(NEXT) | instid1(VALU_DEP_3)
	v_mad_co_u64_u32 v[20:21], null, s9, v182, v[20:21]
	v_lshlrev_b64_e32 v[21:22], 4, v[22:23]
	v_add_co_u32 v18, s0, v6, v18
	s_delay_alu instid0(VALU_DEP_4)
	v_mov_b32_e32 v23, v27
	s_wait_alu 0xf1ff
	v_add_co_ci_u32_e64 v19, s0, v7, v19, s0
	v_mov_b32_e32 v25, v20
	v_add_co_u32 v20, s0, v6, v21
	v_mad_co_u64_u32 v[30:31], null, s9, v255, v[23:24]
	s_wait_alu 0xf1ff
	v_add_co_ci_u32_e64 v21, s0, v7, v22, s0
	v_lshlrev_b64_e32 v[22:23], 4, v[24:25]
	s_delay_alu instid0(VALU_DEP_3) | instskip(SKIP_1) | instid1(VALU_DEP_2)
	v_dual_mov_b32 v24, v29 :: v_dual_mov_b32 v27, v30
	v_mad_co_u64_u32 v[30:31], null, s8, v34, 0
	v_mad_co_u64_u32 v[24:25], null, s9, v32, v[24:25]
	s_delay_alu instid0(VALU_DEP_3)
	v_lshlrev_b64_e32 v[25:26], 4, v[26:27]
	v_mad_co_u64_u32 v[32:33], null, s8, v136, 0
	v_add_co_u32 v22, s0, v6, v22
	v_mov_b32_e32 v27, v31
	v_mov_b32_e32 v29, v24
	s_wait_alu 0xf1ff
	v_add_co_ci_u32_e64 v23, s0, v7, v23, s0
	v_add_co_u32 v24, s0, v6, v25
	v_mad_co_u64_u32 v[34:35], null, s9, v34, v[27:28]
	v_lshlrev_b64_e32 v[27:28], 4, v[28:29]
	s_wait_alu 0xf1ff
	v_add_co_ci_u32_e64 v25, s0, v7, v26, s0
	v_mov_b32_e32 v26, v33
	v_mad_co_u64_u32 v[35:36], null, s8, v132, 0
	v_mov_b32_e32 v31, v34
	s_delay_alu instid0(VALU_DEP_3) | instskip(SKIP_4) | instid1(VALU_DEP_4)
	v_mad_co_u64_u32 v[37:38], null, s9, v136, v[26:27]
	v_add_co_u32 v26, s0, v6, v27
	s_wait_alu 0xf1ff
	v_add_co_ci_u32_e64 v27, s0, v7, v28, s0
	v_lshlrev_b64_e32 v[28:29], 4, v[30:31]
	v_dual_mov_b32 v30, v36 :: v_dual_mov_b32 v33, v37
	v_mad_co_u64_u32 v[37:38], null, s8, v211, 0
	s_delay_alu instid0(VALU_DEP_2) | instskip(NEXT) | instid1(VALU_DEP_3)
	v_mad_co_u64_u32 v[30:31], null, s9, v132, v[30:31]
	v_lshlrev_b64_e32 v[32:33], 4, v[32:33]
	v_add_co_u32 v28, s0, v6, v28
	s_delay_alu instid0(VALU_DEP_4)
	v_mov_b32_e32 v31, v38
	s_wait_alu 0xf1ff
	v_add_co_ci_u32_e64 v29, s0, v7, v29, s0
	v_mov_b32_e32 v36, v30
	v_mov_b32_e32 v30, v40
	v_mad_co_u64_u32 v[40:41], null, s9, v211, v[31:32]
	v_mad_co_u64_u32 v[41:42], null, s8, v204, 0
	v_add_co_u32 v52, s0, v6, v32
	s_wait_alu 0xf1ff
	v_add_co_ci_u32_e64 v53, s0, v7, v33, s0
	s_delay_alu instid0(VALU_DEP_3) | instskip(NEXT) | instid1(VALU_DEP_1)
	v_dual_mov_b32 v38, v40 :: v_dual_mov_b32 v33, v42
	v_mad_co_u64_u32 v[33:34], null, s9, v204, v[33:34]
	s_delay_alu instid0(VALU_DEP_1) | instskip(SKIP_3) | instid1(VALU_DEP_3)
	v_mov_b32_e32 v42, v33
	v_mad_co_u64_u32 v[30:31], null, s9, v208, v[30:31]
	v_lshlrev_b64_e32 v[31:32], 4, v[35:36]
	v_mad_co_u64_u32 v[34:35], null, s8, v43, 0
	v_mov_b32_e32 v40, v30
	s_delay_alu instid0(VALU_DEP_3) | instskip(SKIP_1) | instid1(VALU_DEP_4)
	v_add_co_u32 v54, s0, v6, v31
	s_wait_alu 0xf1ff
	v_add_co_ci_u32_e64 v55, s0, v7, v32, s0
	v_lshlrev_b64_e32 v[30:31], 4, v[37:38]
	v_lshlrev_b64_e32 v[36:37], 4, v[39:40]
	v_mov_b32_e32 v32, v35
	v_mad_co_u64_u32 v[38:39], null, s8, v44, 0
	s_delay_alu instid0(VALU_DEP_4) | instskip(NEXT) | instid1(VALU_DEP_3)
	v_add_co_u32 v64, s0, v6, v30
	v_mad_co_u64_u32 v[32:33], null, s9, v43, v[32:33]
	s_wait_alu 0xf1ff
	v_add_co_ci_u32_e64 v65, s0, v7, v31, s0
	s_delay_alu instid0(VALU_DEP_4)
	v_mov_b32_e32 v33, v39
	v_lshlrev_b64_e32 v[30:31], 4, v[41:42]
	v_add_nc_u32_e32 v42, 0x8a0, v144
	v_add_nc_u32_e32 v43, 0x9c0, v144
	v_mov_b32_e32 v35, v32
	v_mad_co_u64_u32 v[32:33], null, s9, v44, v[33:34]
	v_add_co_u32 v66, s0, v6, v36
	s_wait_alu 0xf1ff
	v_add_co_ci_u32_e64 v67, s0, v7, v37, s0
	v_add_co_u32 v120, s0, v6, v30
	v_mad_co_u64_u32 v[36:37], null, s8, v42, 0
	v_mov_b32_e32 v39, v32
	v_mad_co_u64_u32 v[32:33], null, s8, v43, 0
	s_wait_alu 0xf1ff
	v_add_co_ci_u32_e64 v121, s0, v7, v31, s0
	v_lshlrev_b64_e32 v[30:31], 4, v[34:35]
	v_dual_mov_b32 v34, v37 :: v_dual_add_nc_u32 v35, 0xae0, v144
	v_lshlrev_b64_e32 v[37:38], 4, v[38:39]
	s_delay_alu instid0(VALU_DEP_2) | instskip(NEXT) | instid1(VALU_DEP_4)
	v_mad_co_u64_u32 v[40:41], null, s8, v35, 0
	v_add_co_u32 v122, s0, v6, v30
	v_mov_b32_e32 v30, v33
	s_wait_alu 0xf1ff
	v_add_co_ci_u32_e64 v123, s0, v7, v31, s0
	v_mad_co_u64_u32 v[33:34], null, s9, v42, v[34:35]
	s_delay_alu instid0(VALU_DEP_3) | instskip(SKIP_4) | instid1(VALU_DEP_3)
	v_mad_co_u64_u32 v[30:31], null, s9, v43, v[30:31]
	v_mov_b32_e32 v31, v41
	v_add_co_u32 v124, s0, v6, v37
	s_wait_alu 0xf1ff
	v_add_co_ci_u32_e64 v125, s0, v7, v38, s0
	v_mad_co_u64_u32 v[34:35], null, s9, v35, v[31:32]
	v_mov_b32_e32 v37, v33
	v_mov_b32_e32 v33, v30
	s_delay_alu instid0(VALU_DEP_2) | instskip(NEXT) | instid1(VALU_DEP_4)
	v_lshlrev_b64_e32 v[0:1], 4, v[36:37]
	v_mov_b32_e32 v41, v34
	s_delay_alu instid0(VALU_DEP_3) | instskip(NEXT) | instid1(VALU_DEP_3)
	v_lshlrev_b64_e32 v[2:3], 4, v[32:33]
	v_add_co_u32 v0, s0, v6, v0
	s_delay_alu instid0(VALU_DEP_3) | instskip(SKIP_2) | instid1(VALU_DEP_4)
	v_lshlrev_b64_e32 v[4:5], 4, v[40:41]
	s_wait_alu 0xf1ff
	v_add_co_ci_u32_e64 v1, s0, v7, v1, s0
	v_add_co_u32 v2, s0, v6, v2
	s_wait_alu 0xf1ff
	v_add_co_ci_u32_e64 v3, s0, v7, v3, s0
	v_add_co_u32 v8, s0, v6, v4
	s_wait_alu 0xf1ff
	v_add_co_ci_u32_e64 v9, s0, v7, v5, s0
	s_clause 0x13
	global_load_b128 v[48:51], v[10:11], off
	global_load_b128 v[76:79], v[12:13], off
	;; [unrolled: 1-line block ×20, first 2 shown]
.LBB0_13:
	s_or_b32 exec_lo, exec_lo, s1
	s_wait_loadcnt 0x17
	v_add_f64_e32 v[124:125], v[118:119], v[98:99]
	s_wait_loadcnt 0x15
	v_add_f64_e32 v[126:127], v[114:115], v[102:103]
	v_add_f64_e32 v[120:121], v[116:117], v[96:97]
	;; [unrolled: 1-line block ×3, first 2 shown]
	v_add_f64_e64 v[128:129], v[102:103], -v[114:115]
	v_add_f64_e64 v[190:191], v[102:103], -v[98:99]
	;; [unrolled: 1-line block ×8, first 2 shown]
	s_mov_b32 s6, 0x134454ff
	s_mov_b32 s7, 0xbfee6f0e
	s_mov_b32 s1, 0x3fee6f0e
	s_wait_alu 0xfffe
	s_mov_b32 s0, s6
	v_add_f64_e64 v[217:218], v[86:87], -v[90:91]
	v_add_f64_e64 v[219:220], v[90:91], -v[86:87]
	s_mov_b32 s12, 0x4755a5e
	s_mov_b32 s13, 0xbfe2cf23
	;; [unrolled: 1-line block ×4, first 2 shown]
	v_add_f64_e64 v[200:201], v[84:85], -v[88:89]
	v_add_f64_e64 v[202:203], v[88:89], -v[84:85]
	s_wait_loadcnt 0x14
	v_add_f64_e64 v[221:222], v[104:105], -v[108:109]
	v_add_f64_e64 v[223:224], v[106:107], -v[110:111]
	s_mov_b32 s14, 0x372fe950
	s_mov_b32 s15, 0x3fd3c6ef
	;; [unrolled: 1-line block ×7, first 2 shown]
	s_wait_alu 0xfffe
	s_mov_b32 s16, s20
	s_wait_loadcnt 0x0
	v_add_f64_e32 v[229:230], v[10:11], v[66:67]
	v_add_f64_e32 v[231:232], v[66:67], v[70:71]
	v_add_f64_e64 v[235:236], v[54:55], -v[26:27]
	v_add_f64_e64 v[239:240], v[66:67], -v[54:55]
	v_fma_f64 v[124:125], v[124:125], -0.5, v[94:95]
	v_fma_f64 v[126:127], v[126:127], -0.5, v[94:95]
	v_add_f64_e32 v[94:95], v[102:103], v[94:95]
	v_add_f64_e32 v[102:103], v[110:111], v[90:91]
	v_fma_f64 v[120:121], v[120:121], -0.5, v[92:93]
	v_fma_f64 v[122:123], v[122:123], -0.5, v[92:93]
	v_add_f64_e32 v[92:93], v[100:101], v[92:93]
	v_add_f64_e64 v[241:242], v[10:11], -v[26:27]
	v_add_f64_e64 v[243:244], v[52:53], -v[24:25]
	v_lshl_add_u32 v133, v185, 3, 0
	v_lshl_add_u32 v137, v154, 3, 0
	;; [unrolled: 1-line block ×3, first 2 shown]
	v_fma_f64 v[229:230], v[229:230], -0.5, v[70:71]
	v_add_f64_e32 v[94:95], v[98:99], v[94:95]
	v_add_f64_e64 v[98:99], v[98:99], -v[118:119]
	v_add_f64_e32 v[92:93], v[96:97], v[92:93]
	v_add_f64_e64 v[96:97], v[112:113], -v[116:117]
	v_add_f64_e32 v[239:240], v[241:242], v[239:240]
	v_fma_f64 v[245:246], v[243:244], s[6:7], v[229:230]
	v_fma_f64 v[229:230], v[243:244], s[0:1], v[229:230]
	v_add_f64_e32 v[94:95], v[118:119], v[94:95]
	v_add_f64_e64 v[118:119], v[118:119], -v[114:115]
	v_add_f64_e32 v[92:93], v[116:117], v[92:93]
	v_add_f64_e64 v[116:117], v[116:117], -v[112:113]
	s_delay_alu instid0(VALU_DEP_4)
	v_add_f64_e32 v[100:101], v[114:115], v[94:95]
	v_fma_f64 v[114:115], v[102:103], -0.5, v[82:83]
	v_add_f64_e32 v[102:103], v[106:107], v[86:87]
	v_add_f64_e32 v[94:95], v[104:105], v[84:85]
	;; [unrolled: 1-line block ×4, first 2 shown]
	s_delay_alu instid0(VALU_DEP_4) | instskip(SKIP_2) | instid1(VALU_DEP_4)
	v_fma_f64 v[198:199], v[102:103], -0.5, v[82:83]
	v_add_f64_e32 v[82:83], v[86:87], v[82:83]
	v_fma_f64 v[94:95], v[94:95], -0.5, v[80:81]
	v_fma_f64 v[92:93], v[92:93], -0.5, v[80:81]
	v_add_f64_e32 v[80:81], v[84:85], v[80:81]
	v_add_f64_e64 v[86:87], v[86:87], -v[106:107]
	v_add_f64_e64 v[84:85], v[84:85], -v[104:105]
	v_add_f64_e32 v[82:83], v[90:91], v[82:83]
	v_add_f64_e64 v[90:91], v[90:91], -v[110:111]
	v_add_f64_e32 v[80:81], v[88:89], v[80:81]
	v_add_f64_e64 v[88:89], v[88:89], -v[108:109]
	s_delay_alu instid0(VALU_DEP_4) | instskip(SKIP_1) | instid1(VALU_DEP_4)
	v_add_f64_e32 v[82:83], v[110:111], v[82:83]
	v_add_f64_e64 v[110:111], v[110:111], -v[106:107]
	v_add_f64_e32 v[80:81], v[108:109], v[80:81]
	v_add_f64_e64 v[108:109], v[108:109], -v[104:105]
	s_delay_alu instid0(VALU_DEP_4)
	v_add_f64_e32 v[102:103], v[106:107], v[82:83]
	v_add_f64_e32 v[82:83], v[96:97], v[130:131]
	;; [unrolled: 1-line block ×3, first 2 shown]
	v_fma_f64 v[116:117], v[128:129], s[6:7], v[120:121]
	v_fma_f64 v[120:121], v[128:129], s[0:1], v[120:121]
	;; [unrolled: 1-line block ×4, first 2 shown]
	v_add_f64_e32 v[106:107], v[108:109], v[202:203]
	v_add_f64_e32 v[108:109], v[223:224], v[217:218]
	v_fma_f64 v[186:187], v[88:89], s[0:1], v[198:199]
	v_add_f64_e32 v[80:81], v[104:105], v[80:81]
	v_add_f64_e32 v[104:105], v[221:222], v[200:201]
	;; [unrolled: 1-line block ×3, first 2 shown]
	v_add_f64_e64 v[202:203], v[42:43], -v[38:39]
	v_add_f64_e64 v[221:222], v[62:63], -v[58:59]
	v_fma_f64 v[116:117], v[98:99], s[12:13], v[116:117]
	v_fma_f64 v[98:99], v[98:99], s[2:3], v[120:121]
	;; [unrolled: 1-line block ×16, first 2 shown]
	s_delay_alu instid0(VALU_DEP_3) | instskip(NEXT) | instid1(VALU_DEP_3)
	v_fma_f64 v[94:95], v[88:89], s[2:3], v[94:95]
	v_fma_f64 v[88:89], v[88:89], s[12:13], v[114:115]
	s_delay_alu instid0(VALU_DEP_3)
	v_fma_f64 v[114:115], v[84:85], s[2:3], v[130:131]
	v_fma_f64 v[84:85], v[84:85], s[12:13], v[186:187]
	;; [unrolled: 1-line block ×9, first 2 shown]
	v_add_f64_e32 v[92:93], v[80:81], v[112:113]
	v_fma_f64 v[186:187], v[108:109], s[14:15], v[94:95]
	v_fma_f64 v[108:109], v[108:109], s[14:15], v[88:89]
	;; [unrolled: 1-line block ×4, first 2 shown]
	s_delay_alu instid0(VALU_DEP_4) | instskip(NEXT) | instid1(VALU_DEP_1)
	v_mul_f64_e32 v[82:83], s[12:13], v[186:187]
	v_fma_f64 v[84:85], v[122:123], s[20:21], v[82:83]
	s_delay_alu instid0(VALU_DEP_4) | instskip(NEXT) | instid1(VALU_DEP_2)
	v_mul_f64_e32 v[82:83], s[6:7], v[114:115]
	v_add_f64_e32 v[94:95], v[116:117], v[84:85]
	s_delay_alu instid0(VALU_DEP_2)
	v_fma_f64 v[88:89], v[128:129], s[14:15], v[82:83]
	v_mul_f64_e32 v[82:83], s[6:7], v[110:111]
	v_add_f64_e64 v[84:85], v[116:117], -v[84:85]
	v_add_f64_e32 v[116:117], v[118:119], v[192:193]
	v_fma_f64 v[118:119], v[188:189], s[0:1], v[124:125]
	v_mul_f64_e32 v[110:111], s[18:19], v[110:111]
	v_add_f64_e64 v[192:193], v[32:33], -v[36:37]
	v_add_f64_e64 v[86:87], v[98:99], -v[88:89]
	v_fma_f64 v[90:91], v[106:107], s[18:19], v[82:83]
	v_mul_f64_e32 v[82:83], s[12:13], v[108:109]
	v_add_f64_e32 v[96:97], v[98:99], v[88:89]
	v_fma_f64 v[118:119], v[194:195], s[2:3], v[118:119]
	v_fma_f64 v[106:107], v[106:107], s[0:1], v[110:111]
	s_wait_alu 0xfffe
	v_mul_f64_e32 v[108:109], s[16:17], v[108:109]
	v_add_f64_e64 v[110:111], v[74:75], -v[62:63]
	v_add_f64_e32 v[98:99], v[120:121], v[90:91]
	v_add_f64_e64 v[88:89], v[120:121], -v[90:91]
	v_fma_f64 v[120:121], v[188:189], s[6:7], v[124:125]
	v_fma_f64 v[198:199], v[104:105], s[16:17], v[82:83]
	v_add_f64_e64 v[82:83], v[112:113], -v[80:81]
	v_add_f64_e32 v[112:113], v[196:197], v[190:191]
	v_fma_f64 v[124:125], v[194:195], s[6:7], v[126:127]
	v_fma_f64 v[126:127], v[194:195], s[0:1], v[126:127]
	;; [unrolled: 1-line block ×3, first 2 shown]
	v_add_f64_e64 v[108:109], v[60:61], -v[72:73]
	v_add_f64_e32 v[196:197], v[32:33], v[44:45]
	v_fma_f64 v[120:121], v[194:195], s[12:13], v[120:121]
	v_add_f64_e32 v[80:81], v[130:131], v[198:199]
	v_add_f64_e64 v[90:91], v[130:131], -v[198:199]
	v_fma_f64 v[130:131], v[112:113], s[14:15], v[118:119]
	v_fma_f64 v[124:125], v[188:189], s[2:3], v[124:125]
	;; [unrolled: 1-line block ×3, first 2 shown]
	v_add_f64_e64 v[194:195], v[36:37], -v[32:33]
	v_add_f64_e64 v[198:199], v[46:47], -v[34:35]
	v_fma_f64 v[196:197], v[196:197], -0.5, v[48:49]
	v_add_f64_e64 v[118:119], v[100:101], -v[102:103]
	v_fma_f64 v[188:189], v[112:113], s[14:15], v[120:121]
	v_mul_f64_e32 v[112:113], s[2:3], v[122:123]
	v_fma_f64 v[124:125], v[116:117], s[14:15], v[124:125]
	v_fma_f64 v[190:191], v[116:117], s[14:15], v[126:127]
	;; [unrolled: 1-line block ×5, first 2 shown]
	v_mul_f64_e32 v[112:113], s[0:1], v[128:129]
	v_add_f64_e32 v[186:187], v[74:75], v[78:79]
	v_add_f64_e64 v[128:129], v[190:191], -v[106:107]
	v_fma_f64 v[196:197], v[198:199], s[2:3], v[196:197]
	v_add_f64_e64 v[120:121], v[130:131], -v[116:117]
	v_fma_f64 v[126:127], v[114:115], s[14:15], v[112:113]
	v_add_f64_e32 v[114:115], v[130:131], v[116:117]
	v_add_f64_e32 v[116:117], v[188:189], v[104:105]
	v_add_f64_e64 v[130:131], v[188:189], -v[104:105]
	v_add_f64_e32 v[104:105], v[58:59], v[62:63]
	v_add_f64_e64 v[188:189], v[62:63], -v[74:75]
	v_add_f64_e32 v[112:113], v[102:103], v[100:101]
	v_add_f64_e32 v[100:101], v[56:57], v[60:61]
	;; [unrolled: 1-line block ×3, first 2 shown]
	v_add_f64_e64 v[122:123], v[124:125], -v[126:127]
	v_add_f64_e32 v[124:125], v[124:125], v[126:127]
	v_add_f64_e32 v[126:127], v[190:191], v[106:107]
	v_add_f64_e64 v[190:191], v[44:45], -v[40:41]
	v_add_f64_e32 v[106:107], v[30:31], v[74:75]
	v_fma_f64 v[104:105], v[104:105], -0.5, v[78:79]
	v_add_f64_e64 v[74:75], v[74:75], -v[30:31]
	v_fma_f64 v[100:101], v[100:101], -0.5, v[76:77]
	v_fma_f64 v[102:103], v[102:103], -0.5, v[76:77]
	v_add_f64_e32 v[76:77], v[72:73], v[76:77]
	v_add_f64_e32 v[190:191], v[192:193], v[190:191]
	v_add_f64_e64 v[192:193], v[40:41], -v[44:45]
	v_fma_f64 v[106:107], v[106:107], -0.5, v[78:79]
	v_add_f64_e64 v[78:79], v[72:73], -v[60:61]
	v_add_f64_e64 v[72:73], v[72:73], -v[28:29]
	v_fma_f64 v[223:224], v[221:222], s[0:1], v[102:103]
	v_fma_f64 v[102:103], v[221:222], s[6:7], v[102:103]
	v_add_f64_e32 v[192:193], v[194:195], v[192:193]
	v_add_f64_e64 v[194:195], v[28:29], -v[56:57]
	v_fma_f64 v[219:220], v[72:73], s[0:1], v[104:105]
	v_fma_f64 v[104:105], v[72:73], s[6:7], v[104:105]
	s_delay_alu instid0(VALU_DEP_4) | instskip(NEXT) | instid1(VALU_DEP_4)
	v_fma_f64 v[227:228], v[192:193], s[14:15], v[196:197]
	v_add_f64_e32 v[78:79], v[194:195], v[78:79]
	v_add_f64_e64 v[194:195], v[56:57], -v[28:29]
	s_delay_alu instid0(VALU_DEP_1) | instskip(SKIP_1) | instid1(VALU_DEP_1)
	v_add_f64_e32 v[108:109], v[194:195], v[108:109]
	v_add_f64_e64 v[194:195], v[30:31], -v[58:59]
	v_add_f64_e32 v[110:111], v[194:195], v[110:111]
	v_add_f64_e64 v[194:195], v[58:59], -v[30:31]
	s_delay_alu instid0(VALU_DEP_1) | instskip(SKIP_1) | instid1(VALU_DEP_1)
	v_add_f64_e32 v[188:189], v[194:195], v[188:189]
	v_add_f64_e32 v[194:195], v[36:37], v[40:41]
	v_fma_f64 v[194:195], v[194:195], -0.5, v[48:49]
	v_add_f64_e32 v[48:49], v[44:45], v[48:49]
	s_delay_alu instid0(VALU_DEP_2) | instskip(SKIP_1) | instid1(VALU_DEP_3)
	v_fma_f64 v[200:201], v[198:199], s[6:7], v[194:195]
	v_fma_f64 v[194:195], v[198:199], s[0:1], v[194:195]
	v_add_f64_e32 v[48:49], v[40:41], v[48:49]
	s_delay_alu instid0(VALU_DEP_3) | instskip(NEXT) | instid1(VALU_DEP_3)
	v_fma_f64 v[200:201], v[202:203], s[12:13], v[200:201]
	v_fma_f64 v[194:195], v[202:203], s[2:3], v[194:195]
	;; [unrolled: 1-line block ×3, first 2 shown]
	v_add_f64_e64 v[198:199], v[60:61], -v[56:57]
	v_add_f64_e32 v[60:61], v[60:61], v[76:77]
	v_add_f64_e32 v[48:49], v[36:37], v[48:49]
	v_add_f64_e64 v[36:37], v[40:41], -v[36:37]
	v_fma_f64 v[225:226], v[192:193], s[14:15], v[202:203]
	v_fma_f64 v[217:218], v[198:199], s[6:7], v[106:107]
	;; [unrolled: 1-line block ×4, first 2 shown]
	v_add_f64_e32 v[56:57], v[56:57], v[60:61]
	v_add_f64_e32 v[48:49], v[32:33], v[48:49]
	v_add_f64_e64 v[32:33], v[44:45], -v[32:33]
	v_add_f64_e64 v[44:45], v[46:47], -v[42:43]
	v_fma_f64 v[217:218], v[72:73], s[2:3], v[217:218]
	v_fma_f64 v[72:73], v[72:73], s[12:13], v[106:107]
	;; [unrolled: 1-line block ×5, first 2 shown]
	v_add_f64_e32 v[28:29], v[28:29], v[56:57]
	v_fma_f64 v[192:193], v[188:189], s[14:15], v[72:73]
	v_fma_f64 v[106:107], v[221:222], s[12:13], v[106:107]
	;; [unrolled: 1-line block ×9, first 2 shown]
	v_mul_f64_e32 v[72:73], s[6:7], v[192:193]
	v_fma_f64 v[198:199], v[78:79], s[14:15], v[106:107]
	v_fma_f64 v[188:189], v[78:79], s[14:15], v[100:101]
	;; [unrolled: 1-line block ×5, first 2 shown]
	v_add_f64_e64 v[78:79], v[48:49], -v[28:29]
	v_mul_f64_e32 v[60:61], s[6:7], v[190:191]
	s_delay_alu instid0(VALU_DEP_4) | instskip(SKIP_2) | instid1(VALU_DEP_4)
	v_fma_f64 v[108:109], v[194:195], s[18:19], v[72:73]
	v_mul_f64_e32 v[72:73], s[12:13], v[196:197]
	v_mul_f64_e32 v[56:57], s[12:13], v[202:203]
	v_fma_f64 v[60:61], v[200:201], s[14:15], v[60:61]
	s_delay_alu instid0(VALU_DEP_4) | instskip(NEXT) | instid1(VALU_DEP_4)
	v_add_f64_e32 v[106:107], v[227:228], v[108:109]
	v_fma_f64 v[110:111], v[188:189], s[16:17], v[72:73]
	v_add_f64_e32 v[72:73], v[28:29], v[48:49]
	v_add_f64_e64 v[28:29], v[16:17], -v[12:13]
	v_add_f64_e64 v[48:49], v[0:1], -v[4:5]
	v_fma_f64 v[56:57], v[198:199], s[20:21], v[56:57]
	v_add_f64_e64 v[102:103], v[225:226], -v[60:61]
	v_add_f64_e32 v[104:105], v[225:226], v[60:61]
	v_add_f64_e64 v[60:61], v[18:19], -v[2:3]
	v_add_f64_e64 v[108:109], v[227:228], -v[108:109]
	v_add_f64_e32 v[227:228], v[26:27], v[54:55]
	v_add_f64_e32 v[225:226], v[8:9], v[64:65]
	v_add_f64_e32 v[76:77], v[223:224], v[110:111]
	v_add_f64_e64 v[110:111], v[223:224], -v[110:111]
	v_add_f64_e64 v[223:224], v[4:5], -v[0:1]
	v_add_f64_e32 v[28:29], v[48:49], v[28:29]
	v_add_f64_e32 v[48:49], v[4:5], v[12:13]
	;; [unrolled: 1-line block ×3, first 2 shown]
	v_add_f64_e64 v[100:101], v[219:220], -v[56:57]
	v_add_f64_e32 v[56:57], v[0:1], v[16:17]
	v_add_f64_e64 v[219:220], v[14:15], -v[6:7]
	v_fma_f64 v[227:228], v[227:228], -0.5, v[70:71]
	v_add_f64_e64 v[70:71], v[66:67], -v[10:11]
	v_fma_f64 v[225:226], v[225:226], -0.5, v[68:69]
	v_add_f64_e64 v[66:67], v[54:55], -v[66:67]
	v_add_f64_e32 v[54:55], v[54:55], v[231:232]
	v_fma_f64 v[48:49], v[48:49], -0.5, v[20:21]
	v_fma_f64 v[56:57], v[56:57], -0.5, v[20:21]
	v_add_f64_e32 v[20:21], v[16:17], v[20:21]
	v_fma_f64 v[237:238], v[235:236], s[0:1], v[225:226]
	v_fma_f64 v[225:226], v[235:236], s[6:7], v[225:226]
	v_fma_f64 v[217:218], v[60:61], s[6:7], v[48:49]
	v_fma_f64 v[48:49], v[60:61], s[0:1], v[48:49]
	v_fma_f64 v[221:222], v[219:220], s[0:1], v[56:57]
	v_fma_f64 v[56:57], v[219:220], s[6:7], v[56:57]
	v_add_f64_e32 v[20:21], v[12:13], v[20:21]
	v_fma_f64 v[217:218], v[219:220], s[12:13], v[217:218]
	v_fma_f64 v[48:49], v[219:220], s[2:3], v[48:49]
	v_add_f64_e64 v[219:220], v[12:13], -v[16:17]
	v_fma_f64 v[221:222], v[60:61], s[12:13], v[221:222]
	v_fma_f64 v[56:57], v[60:61], s[2:3], v[56:57]
	v_add_f64_e64 v[60:61], v[64:65], -v[52:53]
	v_add_f64_e32 v[20:21], v[4:5], v[20:21]
	v_fma_f64 v[217:218], v[28:29], s[14:15], v[217:218]
	v_fma_f64 v[28:29], v[28:29], s[14:15], v[48:49]
	v_add_f64_e32 v[219:220], v[223:224], v[219:220]
	v_add_f64_e64 v[223:224], v[8:9], -v[24:25]
	v_add_f64_e32 v[20:21], v[0:1], v[20:21]
	s_delay_alu instid0(VALU_DEP_3) | instskip(NEXT) | instid1(VALU_DEP_3)
	v_fma_f64 v[48:49], v[219:220], s[14:15], v[221:222]
	v_add_f64_e32 v[60:61], v[223:224], v[60:61]
	v_add_f64_e32 v[223:224], v[24:25], v[52:53]
	v_fma_f64 v[56:57], v[219:220], s[14:15], v[56:57]
	s_delay_alu instid0(VALU_DEP_2) | instskip(SKIP_1) | instid1(VALU_DEP_2)
	v_fma_f64 v[223:224], v[223:224], -0.5, v[68:69]
	v_add_f64_e32 v[68:69], v[64:65], v[68:69]
	v_fma_f64 v[233:234], v[70:71], s[6:7], v[223:224]
	v_fma_f64 v[223:224], v[70:71], s[0:1], v[223:224]
	s_delay_alu instid0(VALU_DEP_2) | instskip(NEXT) | instid1(VALU_DEP_2)
	v_fma_f64 v[233:234], v[235:236], s[12:13], v[233:234]
	v_fma_f64 v[223:224], v[235:236], s[2:3], v[223:224]
	v_add_f64_e64 v[235:236], v[52:53], -v[64:65]
	v_add_f64_e64 v[64:65], v[64:65], -v[8:9]
	v_add_f64_e32 v[52:53], v[52:53], v[68:69]
	v_fma_f64 v[233:234], v[60:61], s[14:15], v[233:234]
	v_fma_f64 v[60:61], v[60:61], s[14:15], v[223:224]
	s_delay_alu instid0(VALU_DEP_4) | instskip(SKIP_1) | instid1(VALU_DEP_2)
	v_fma_f64 v[241:242], v[64:65], s[0:1], v[227:228]
	v_fma_f64 v[227:228], v[64:65], s[6:7], v[227:228]
	;; [unrolled: 1-line block ×3, first 2 shown]
	s_delay_alu instid0(VALU_DEP_2) | instskip(SKIP_3) | instid1(VALU_DEP_3)
	v_fma_f64 v[227:228], v[243:244], s[12:13], v[227:228]
	v_add_f64_e64 v[243:244], v[26:27], -v[10:11]
	v_add_f64_e32 v[26:27], v[26:27], v[54:55]
	v_add_f64_e64 v[54:55], v[18:19], -v[14:15]
	v_add_f64_e32 v[66:67], v[243:244], v[66:67]
	v_fma_f64 v[243:244], v[64:65], s[2:3], v[245:246]
	v_fma_f64 v[64:65], v[64:65], s[12:13], v[229:230]
	v_add_f64_e64 v[229:230], v[24:25], -v[8:9]
	v_add_f64_e32 v[24:25], v[24:25], v[52:53]
	v_add_f64_e32 v[26:27], v[10:11], v[26:27]
	s_delay_alu instid0(VALU_DEP_3)
	v_add_f64_e32 v[229:230], v[229:230], v[235:236]
	v_fma_f64 v[235:236], v[70:71], s[12:13], v[237:238]
	v_fma_f64 v[70:71], v[70:71], s[2:3], v[225:226]
	;; [unrolled: 1-line block ×6, first 2 shown]
	v_add_f64_e32 v[8:9], v[8:9], v[24:25]
	v_fma_f64 v[235:236], v[229:230], s[14:15], v[235:236]
	v_fma_f64 v[229:230], v[229:230], s[14:15], v[70:71]
	v_mul_f64_e32 v[24:25], s[12:13], v[237:238]
	v_mul_f64_e32 v[52:53], s[6:7], v[241:242]
	;; [unrolled: 1-line block ×3, first 2 shown]
	v_add_f64_e64 v[223:224], v[20:21], -v[8:9]
	s_delay_alu instid0(VALU_DEP_4) | instskip(NEXT) | instid1(VALU_DEP_4)
	v_fma_f64 v[24:25], v[233:234], s[20:21], v[24:25]
	v_fma_f64 v[52:53], v[235:236], s[14:15], v[52:53]
	s_delay_alu instid0(VALU_DEP_4) | instskip(SKIP_1) | instid1(VALU_DEP_4)
	v_fma_f64 v[225:226], v[229:230], s[18:19], v[64:65]
	v_mul_f64_e32 v[64:65], s[12:13], v[239:240]
	v_add_f64_e32 v[66:67], v[217:218], v[24:25]
	v_add_f64_e64 v[68:69], v[217:218], -v[24:25]
	v_add_f64_e32 v[217:218], v[48:49], v[52:53]
	s_delay_alu instid0(VALU_DEP_4)
	v_fma_f64 v[227:228], v[60:61], s[16:17], v[64:65]
	v_add_f64_e32 v[64:65], v[8:9], v[20:21]
	v_add_f64_e32 v[219:220], v[56:57], v[225:226]
	v_add_f64_e64 v[70:71], v[48:49], -v[52:53]
	v_add_f64_e64 v[225:226], v[56:57], -v[225:226]
	v_mul_u32_u24_e32 v8, 10, v144
	s_delay_alu instid0(VALU_DEP_1)
	v_lshl_add_u32 v56, v8, 3, 0
	v_mul_i32_i24_e32 v8, 10, v150
	ds_store_b128 v56, v[92:95]
	ds_store_b128 v56, v[96:99] offset:16
	ds_store_b128 v56, v[80:83] offset:32
	;; [unrolled: 1-line block ×4, first 2 shown]
	v_lshl_add_u32 v141, v8, 3, 0
	v_mul_i32_i24_e32 v8, 10, v148
	v_mad_i32_i24 v135, 0xffffffb8, v144, v56
	ds_store_b128 v141, v[72:75]
	ds_store_b128 v141, v[104:107] offset:16
	ds_store_b128 v141, v[76:79] offset:32
	;; [unrolled: 1-line block ×4, first 2 shown]
	v_lshl_add_u32 v143, v8, 3, 0
	v_mad_i32_i24 v149, 0xffffffb8, v150, v141
	v_add_nc_u32_e32 v153, 0x2800, v135
	v_add_nc_u32_e32 v157, 0x100, v135
	v_add_nc_u32_e32 v139, 0x3000, v135
	v_mad_i32_i24 v151, 0xffffffb8, v148, v143
	v_add_nc_u32_e32 v165, 0x4c00, v135
	v_add_nc_u32_e32 v163, 0x1400, v135
	;; [unrolled: 1-line block ×5, first 2 shown]
	v_add_f64_e32 v[221:222], v[28:29], v[227:228]
	v_add_f64_e64 v[227:228], v[28:29], -v[227:228]
	ds_store_b128 v143, v[64:67]
	ds_store_b128 v143, v[217:220] offset:16
	ds_store_b128 v143, v[221:224] offset:32
	;; [unrolled: 1-line block ×4, first 2 shown]
	global_wb scope:SCOPE_SE
	s_wait_storecnt_dscnt 0x0
	s_barrier_signal -1
	s_barrier_wait -1
	global_inv scope:SCOPE_SE
	v_add_nc_u32_e32 v218, 0x3800, v135
	v_add_nc_u32_e32 v219, 0x4800, v135
	v_add_nc_u32_e32 v220, 0x5000, v135
	v_lshl_add_u32 v217, v183, 3, 0
	ds_load_b64 v[28:29], v149
	ds_load_b64 v[24:25], v151
	;; [unrolled: 1-line block ×6, first 2 shown]
	ds_load_2addr_stride64_b64 v[64:67], v135 offset1:9
	ds_load_2addr_b64 v[80:83], v153 offset0:64 offset1:160
	ds_load_2addr_b64 v[108:111], v218 offset0:128 offset1:224
	ds_load_2addr_b64 v[72:75], v219 offset1:96
	ds_load_2addr_stride64_b64 v[84:87], v157 offset0:13 offset1:16
	ds_load_2addr_b64 v[104:107], v139 offset1:96
	ds_load_2addr_b64 v[100:103], v165 offset0:64 offset1:160
	ds_load_2addr_b64 v[96:99], v163 offset0:32 offset1:128
	;; [unrolled: 1-line block ×6, first 2 shown]
	global_wb scope:SCOPE_SE
	s_wait_dscnt 0x0
	s_barrier_signal -1
	s_barrier_wait -1
	global_inv scope:SCOPE_SE
	ds_store_b128 v56, v[112:115]
	ds_store_b128 v56, v[124:127] offset:16
	ds_store_b128 v56, v[116:119] offset:32
	;; [unrolled: 1-line block ×4, first 2 shown]
	v_add_f64_e32 v[56:57], v[62:63], v[186:187]
	v_add_f64_e32 v[62:63], v[34:35], v[46:47]
	v_add_f64_e64 v[112:113], v[2:3], -v[6:7]
	v_add_f64_e64 v[114:115], v[6:7], -v[2:3]
	v_and_b32_e32 v125, 0xff, v150
	v_and_b32_e32 v126, 0xffff, v148
	;; [unrolled: 1-line block ×4, first 2 shown]
	v_add_f64_e32 v[56:57], v[58:59], v[56:57]
	v_add_f64_e32 v[58:59], v[38:39], v[42:43]
	v_fma_f64 v[62:63], v[62:63], -0.5, v[50:51]
	s_delay_alu instid0(VALU_DEP_3) | instskip(NEXT) | instid1(VALU_DEP_3)
	v_add_f64_e32 v[30:31], v[30:31], v[56:57]
	v_fma_f64 v[58:59], v[58:59], -0.5, v[50:51]
	v_add_f64_e32 v[50:51], v[46:47], v[50:51]
	v_add_f64_e64 v[46:47], v[42:43], -v[46:47]
	v_add_f64_e64 v[56:57], v[16:17], -v[0:1]
	v_fma_f64 v[10:11], v[36:37], s[6:7], v[62:63]
	s_delay_alu instid0(VALU_DEP_4) | instskip(SKIP_1) | instid1(VALU_DEP_3)
	v_add_f64_e32 v[42:43], v[42:43], v[50:51]
	v_add_f64_e32 v[50:51], v[2:3], v[18:19]
	v_fma_f64 v[10:11], v[32:33], s[2:3], v[10:11]
	s_delay_alu instid0(VALU_DEP_3) | instskip(SKIP_3) | instid1(VALU_DEP_4)
	v_add_f64_e32 v[40:41], v[38:39], v[42:43]
	v_add_f64_e64 v[42:43], v[34:35], -v[38:39]
	v_add_f64_e64 v[38:39], v[38:39], -v[34:35]
	v_fma_f64 v[50:51], v[50:51], -0.5, v[22:23]
	v_add_f64_e32 v[34:35], v[34:35], v[40:41]
	v_add_f64_e32 v[40:41], v[6:7], v[14:15]
	s_delay_alu instid0(VALU_DEP_2) | instskip(NEXT) | instid1(VALU_DEP_2)
	v_add_f64_e64 v[16:17], v[34:35], -v[30:31]
	v_fma_f64 v[40:41], v[40:41], -0.5, v[22:23]
	v_add_f64_e32 v[22:23], v[18:19], v[22:23]
	v_add_f64_e64 v[18:19], v[14:15], -v[18:19]
	s_delay_alu instid0(VALU_DEP_2)
	v_add_f64_e32 v[0:1], v[14:15], v[22:23]
	v_add_f64_e64 v[22:23], v[12:13], -v[4:5]
	v_fma_f64 v[4:5], v[32:33], s[0:1], v[58:59]
	v_fma_f64 v[12:13], v[36:37], s[0:1], v[62:63]
	v_add_f64_e32 v[18:19], v[114:115], v[18:19]
	v_add_f64_e32 v[0:1], v[6:7], v[0:1]
	v_fma_f64 v[6:7], v[32:33], s[6:7], v[58:59]
	v_fma_f64 v[4:5], v[36:37], s[2:3], v[4:5]
	;; [unrolled: 1-line block ×3, first 2 shown]
	s_delay_alu instid0(VALU_DEP_4) | instskip(SKIP_3) | instid1(VALU_DEP_3)
	v_add_f64_e32 v[116:117], v[2:3], v[0:1]
	v_add_f64_e32 v[0:1], v[42:43], v[44:45]
	v_fma_f64 v[6:7], v[36:37], s[12:13], v[6:7]
	v_add_f64_e32 v[2:3], v[38:39], v[46:47]
	v_fma_f64 v[4:5], v[0:1], s[14:15], v[4:5]
	s_delay_alu instid0(VALU_DEP_3) | instskip(SKIP_1) | instid1(VALU_DEP_4)
	v_fma_f64 v[32:33], v[0:1], s[14:15], v[6:7]
	v_mul_f64_e32 v[0:1], s[2:3], v[198:199]
	v_fma_f64 v[36:37], v[2:3], s[14:15], v[12:13]
	v_fma_f64 v[10:11], v[2:3], s[14:15], v[10:11]
	s_delay_alu instid0(VALU_DEP_3) | instskip(SKIP_1) | instid1(VALU_DEP_2)
	v_fma_f64 v[6:7], v[202:203], s[20:21], v[0:1]
	v_mul_f64_e32 v[0:1], s[0:1], v[200:201]
	v_add_f64_e32 v[2:3], v[4:5], v[6:7]
	s_delay_alu instid0(VALU_DEP_2) | instskip(SKIP_2) | instid1(VALU_DEP_3)
	v_fma_f64 v[12:13], v[190:191], s[14:15], v[0:1]
	v_mul_f64_e32 v[0:1], s[18:19], v[192:193]
	v_add_f64_e64 v[4:5], v[4:5], -v[6:7]
	v_add_f64_e64 v[6:7], v[10:11], -v[12:13]
	s_delay_alu instid0(VALU_DEP_3) | instskip(SKIP_2) | instid1(VALU_DEP_3)
	v_fma_f64 v[38:39], v[194:195], s[0:1], v[0:1]
	v_mul_f64_e32 v[0:1], s[16:17], v[196:197]
	v_add_f64_e32 v[10:11], v[10:11], v[12:13]
	v_add_f64_e32 v[12:13], v[36:37], v[38:39]
	s_delay_alu instid0(VALU_DEP_3)
	v_fma_f64 v[42:43], v[188:189], s[2:3], v[0:1]
	v_add_f64_e32 v[0:1], v[30:31], v[34:35]
	v_add_f64_e64 v[30:31], v[36:37], -v[38:39]
	v_fma_f64 v[36:37], v[56:57], s[0:1], v[40:41]
	v_fma_f64 v[38:39], v[56:57], s[6:7], v[40:41]
	v_add_f64_e32 v[34:35], v[112:113], v[54:55]
	v_fma_f64 v[40:41], v[22:23], s[6:7], v[50:51]
	s_mov_b32 s6, 0xe8584caa
	s_mov_b32 s7, 0xbfebb67a
	v_add_f64_e32 v[14:15], v[32:33], v[42:43]
	v_add_f64_e64 v[32:33], v[32:33], -v[42:43]
	v_fma_f64 v[42:43], v[22:23], s[0:1], v[50:51]
	v_fma_f64 v[36:37], v[22:23], s[2:3], v[36:37]
	;; [unrolled: 1-line block ×4, first 2 shown]
	s_delay_alu instid0(VALU_DEP_4) | instskip(NEXT) | instid1(VALU_DEP_4)
	v_fma_f64 v[40:41], v[56:57], s[12:13], v[42:43]
	v_fma_f64 v[42:43], v[34:35], s[14:15], v[36:37]
	s_delay_alu instid0(VALU_DEP_4) | instskip(SKIP_4) | instid1(VALU_DEP_4)
	v_fma_f64 v[22:23], v[34:35], s[14:15], v[22:23]
	v_mul_f64_e32 v[34:35], s[2:3], v[233:234]
	v_fma_f64 v[50:51], v[18:19], s[14:15], v[38:39]
	v_add_f64_e64 v[56:57], v[116:117], -v[26:27]
	v_fma_f64 v[18:19], v[18:19], s[14:15], v[40:41]
	v_fma_f64 v[44:45], v[237:238], s[20:21], v[34:35]
	v_mul_f64_e32 v[34:35], s[0:1], v[235:236]
	s_delay_alu instid0(VALU_DEP_2) | instskip(NEXT) | instid1(VALU_DEP_2)
	v_add_f64_e32 v[36:37], v[42:43], v[44:45]
	v_fma_f64 v[46:47], v[241:242], s[14:15], v[34:35]
	v_mul_f64_e32 v[34:35], s[18:19], v[243:244]
	v_add_f64_e64 v[38:39], v[42:43], -v[44:45]
	s_delay_alu instid0(VALU_DEP_3) | instskip(NEXT) | instid1(VALU_DEP_3)
	v_add_f64_e32 v[42:43], v[50:51], v[46:47]
	v_fma_f64 v[58:59], v[229:230], s[0:1], v[34:35]
	v_mul_f64_e32 v[34:35], s[16:17], v[239:240]
	v_add_f64_e64 v[40:41], v[50:51], -v[46:47]
	v_cmp_gt_u32_e64 s0, 60, v144
	s_delay_alu instid0(VALU_DEP_4) | instskip(NEXT) | instid1(VALU_DEP_4)
	v_add_f64_e32 v[44:45], v[18:19], v[58:59]
	v_fma_f64 v[60:61], v[60:61], s[2:3], v[34:35]
	v_add_f64_e32 v[34:35], v[26:27], v[116:117]
	v_add_f64_e64 v[58:59], v[18:19], -v[58:59]
	s_mov_b32 s3, 0x3febb67a
	s_wait_alu 0xfffe
	s_mov_b32 s2, s6
	s_delay_alu instid0(VALU_DEP_3)
	v_add_f64_e32 v[54:55], v[22:23], v[60:61]
	v_add_f64_e64 v[60:61], v[22:23], -v[60:61]
	ds_store_b128 v141, v[0:3]
	ds_store_b128 v141, v[10:13] offset:16
	ds_store_b128 v141, v[14:17] offset:32
	;; [unrolled: 1-line block ×4, first 2 shown]
	ds_store_b128 v143, v[34:37]
	ds_store_b128 v143, v[42:45] offset:16
	ds_store_b128 v143, v[54:57] offset:32
	;; [unrolled: 1-line block ×4, first 2 shown]
	v_and_b32_e32 v0, 0xff, v144
	global_wb scope:SCOPE_SE
	s_wait_dscnt 0x0
	s_barrier_signal -1
	s_barrier_wait -1
	global_inv scope:SCOPE_SE
	v_mul_lo_u16 v0, 0xcd, v0
	ds_load_2addr_b64 v[10:13], v218 offset0:128 offset1:224
	v_lshrrev_b16 v26, 11, v0
	s_delay_alu instid0(VALU_DEP_1) | instskip(SKIP_1) | instid1(VALU_DEP_2)
	v_mul_lo_u16 v0, v26, 10
	v_and_b32_e32 v26, 0xffff, v26
	v_sub_nc_u16 v0, v144, v0
	s_delay_alu instid0(VALU_DEP_2) | instskip(NEXT) | instid1(VALU_DEP_2)
	v_mul_u32_u24_e32 v26, 0x1e0, v26
	v_and_b32_e32 v27, 0xff, v0
	s_delay_alu instid0(VALU_DEP_1) | instskip(SKIP_1) | instid1(VALU_DEP_2)
	v_mul_u32_u24_e32 v0, 5, v27
	v_lshlrev_b32_e32 v27, 3, v27
	v_lshlrev_b32_e32 v30, 4, v0
	s_delay_alu instid0(VALU_DEP_2)
	v_add3_u32 v146, 0, v26, v27
	s_clause 0x1
	global_load_b128 v[2:5], v30, s[4:5] offset:48
	global_load_b128 v[39:42], v30, s[4:5] offset:32
	s_wait_loadcnt_dscnt 0x100
	v_mul_f64_e32 v[0:1], v[10:11], v[4:5]
	v_mul_f64_e32 v[4:5], v[108:109], v[4:5]
	s_delay_alu instid0(VALU_DEP_2) | instskip(NEXT) | instid1(VALU_DEP_2)
	v_fma_f64 v[0:1], v[108:109], v[2:3], v[0:1]
	v_fma_f64 v[2:3], v[10:11], v[2:3], -v[4:5]
	v_mul_lo_u16 v4, 0xcd, v125
	s_delay_alu instid0(VALU_DEP_1) | instskip(NEXT) | instid1(VALU_DEP_1)
	v_lshrrev_b16 v35, 11, v4
	v_mul_lo_u16 v4, v35, 10
	s_delay_alu instid0(VALU_DEP_1) | instskip(NEXT) | instid1(VALU_DEP_1)
	v_sub_nc_u16 v4, v150, v4
	v_and_b32_e32 v36, 0xff, v4
	s_delay_alu instid0(VALU_DEP_1) | instskip(NEXT) | instid1(VALU_DEP_1)
	v_mul_u32_u24_e32 v4, 5, v36
	v_lshlrev_b32_e32 v47, 4, v4
	s_clause 0x2
	global_load_b128 v[4:7], v47, s[4:5] offset:48
	global_load_b128 v[16:19], v47, s[4:5] offset:64
	;; [unrolled: 1-line block ×3, first 2 shown]
	s_wait_loadcnt 0x2
	v_mul_f64_e32 v[10:11], v[12:13], v[6:7]
	v_mul_f64_e32 v[6:7], v[110:111], v[6:7]
	s_delay_alu instid0(VALU_DEP_2) | instskip(NEXT) | instid1(VALU_DEP_2)
	v_fma_f64 v[62:63], v[110:111], v[4:5], v[10:11]
	v_fma_f64 v[108:109], v[12:13], v[4:5], -v[6:7]
	global_load_b128 v[4:7], v47, s[4:5] offset:32
	ds_load_2addr_b64 v[10:13], v139 offset1:96
	s_wait_loadcnt_dscnt 0x0
	v_mul_f64_e32 v[14:15], v[10:11], v[6:7]
	v_mul_f64_e32 v[6:7], v[104:105], v[6:7]
	s_delay_alu instid0(VALU_DEP_2) | instskip(NEXT) | instid1(VALU_DEP_2)
	v_fma_f64 v[14:15], v[104:105], v[4:5], v[14:15]
	v_fma_f64 v[110:111], v[10:11], v[4:5], -v[6:7]
	v_mul_u32_u24_e32 v4, 0xcccd, v126
	s_delay_alu instid0(VALU_DEP_1) | instskip(NEXT) | instid1(VALU_DEP_1)
	v_lshrrev_b32_e32 v33, 19, v4
	v_mul_lo_u16 v4, v33, 10
	s_delay_alu instid0(VALU_DEP_1) | instskip(NEXT) | instid1(VALU_DEP_1)
	v_sub_nc_u16 v4, v148, v4
	v_and_b32_e32 v34, 0xffff, v4
	s_delay_alu instid0(VALU_DEP_1) | instskip(NEXT) | instid1(VALU_DEP_1)
	v_mul_u32_u24_e32 v4, 5, v34
	v_lshlrev_b32_e32 v10, 4, v4
	s_clause 0x1
	global_load_b128 v[54:57], v10, s[4:5] offset:32
	global_load_b128 v[58:61], v10, s[4:5] offset:48
	s_wait_loadcnt 0x1
	v_mul_f64_e32 v[4:5], v[12:13], v[56:57]
	s_delay_alu instid0(VALU_DEP_1) | instskip(SKIP_1) | instid1(VALU_DEP_1)
	v_fma_f64 v[6:7], v[106:107], v[54:55], v[4:5]
	v_mul_f64_e32 v[4:5], v[106:107], v[56:57]
	v_fma_f64 v[104:105], v[12:13], v[54:55], -v[4:5]
	ds_load_2addr_b64 v[54:57], v165 offset0:64 offset1:160
	s_wait_dscnt 0x0
	v_mul_f64_e32 v[4:5], v[54:55], v[18:19]
	s_delay_alu instid0(VALU_DEP_1) | instskip(SKIP_1) | instid1(VALU_DEP_1)
	v_fma_f64 v[22:23], v[100:101], v[16:17], v[4:5]
	v_mul_f64_e32 v[4:5], v[100:101], v[18:19]
	v_fma_f64 v[106:107], v[54:55], v[16:17], -v[4:5]
	v_mul_u32_u24_e32 v4, 0xcccd, v127
	s_delay_alu instid0(VALU_DEP_1) | instskip(NEXT) | instid1(VALU_DEP_1)
	v_lshrrev_b32_e32 v31, 19, v4
	v_mul_lo_u16 v4, v31, 10
	s_delay_alu instid0(VALU_DEP_1) | instskip(NEXT) | instid1(VALU_DEP_1)
	v_sub_nc_u16 v4, v175, v4
	v_and_b32_e32 v32, 0xffff, v4
	s_delay_alu instid0(VALU_DEP_1) | instskip(NEXT) | instid1(VALU_DEP_1)
	v_mul_u32_u24_e32 v4, 5, v32
	v_lshlrev_b32_e32 v37, 4, v4
	s_clause 0x1
	global_load_b128 v[16:19], v10, s[4:5] offset:64
	global_load_b128 v[112:115], v37, s[4:5]
	s_wait_loadcnt 0x1
	v_mul_f64_e32 v[4:5], v[56:57], v[18:19]
	s_delay_alu instid0(VALU_DEP_1) | instskip(SKIP_1) | instid1(VALU_DEP_1)
	v_fma_f64 v[12:13], v[102:103], v[16:17], v[4:5]
	v_mul_f64_e32 v[4:5], v[102:103], v[18:19]
	v_fma_f64 v[100:101], v[56:57], v[16:17], -v[4:5]
	s_clause 0x1
	global_load_b128 v[54:57], v10, s[4:5]
	global_load_b128 v[116:119], v10, s[4:5] offset:16
	ds_load_2addr_b64 v[120:123], v163 offset0:32 offset1:128
	s_wait_loadcnt 0x2
	v_mul_f64_e32 v[10:11], v[98:99], v[114:115]
	s_wait_loadcnt_dscnt 0x100
	v_mul_f64_e32 v[4:5], v[120:121], v[56:57]
	s_delay_alu instid0(VALU_DEP_1) | instskip(SKIP_1) | instid1(VALU_DEP_4)
	v_fma_f64 v[16:17], v[96:97], v[54:55], v[4:5]
	v_mul_f64_e32 v[4:5], v[96:97], v[56:57]
	v_fma_f64 v[96:97], v[122:123], v[112:113], -v[10:11]
	s_delay_alu instid0(VALU_DEP_2) | instskip(SKIP_4) | instid1(VALU_DEP_2)
	v_fma_f64 v[102:103], v[120:121], v[54:55], -v[4:5]
	ds_load_2addr_b64 v[54:57], v161 offset0:128 offset1:224
	v_mul_f64_e32 v[4:5], v[122:123], v[114:115]
	s_wait_loadcnt_dscnt 0x0
	v_mul_f64_e32 v[10:11], v[54:55], v[118:119]
	v_fma_f64 v[4:5], v[98:99], v[112:113], v[4:5]
	s_delay_alu instid0(VALU_DEP_2) | instskip(SKIP_1) | instid1(VALU_DEP_1)
	v_fma_f64 v[98:99], v[92:93], v[116:117], v[10:11]
	v_mul_f64_e32 v[10:11], v[92:93], v[118:119]
	v_fma_f64 v[112:113], v[54:55], v[116:117], -v[10:11]
	s_clause 0x1
	global_load_b128 v[114:117], v37, s[4:5] offset:16
	global_load_b128 v[128:131], v37, s[4:5] offset:32
	s_wait_loadcnt 0x1
	v_mul_f64_e32 v[10:11], v[56:57], v[116:117]
	s_delay_alu instid0(VALU_DEP_1) | instskip(SKIP_1) | instid1(VALU_DEP_1)
	v_fma_f64 v[92:93], v[94:95], v[114:115], v[10:11]
	v_mul_f64_e32 v[10:11], v[94:95], v[116:117]
	v_fma_f64 v[94:95], v[56:57], v[114:115], -v[10:11]
	ds_load_2addr_b64 v[54:57], v159 offset0:64 offset1:160
	s_wait_dscnt 0x0
	v_mul_f64_e32 v[10:11], v[54:55], v[60:61]
	s_delay_alu instid0(VALU_DEP_1) | instskip(SKIP_1) | instid1(VALU_DEP_1)
	v_fma_f64 v[114:115], v[88:89], v[58:59], v[10:11]
	v_mul_f64_e32 v[10:11], v[88:89], v[60:61]
	v_fma_f64 v[88:89], v[54:55], v[58:59], -v[10:11]
	s_clause 0x1
	global_load_b128 v[58:61], v37, s[4:5] offset:48
	global_load_b128 v[186:189], v37, s[4:5] offset:64
	s_wait_loadcnt 0x1
	v_mul_f64_e32 v[10:11], v[56:57], v[60:61]
	s_delay_alu instid0(VALU_DEP_1) | instskip(SKIP_1) | instid1(VALU_DEP_1)
	v_fma_f64 v[116:117], v[90:91], v[58:59], v[10:11]
	v_mul_f64_e32 v[10:11], v[90:91], v[60:61]
	v_fma_f64 v[90:91], v[56:57], v[58:59], -v[10:11]
	ds_load_2addr_stride64_b64 v[54:57], v157 offset0:13 offset1:16
	s_wait_dscnt 0x0
	v_mul_f64_e32 v[10:11], v[56:57], v[45:46]
	s_delay_alu instid0(VALU_DEP_1) | instskip(SKIP_1) | instid1(VALU_DEP_1)
	v_fma_f64 v[118:119], v[86:87], v[43:44], v[10:11]
	v_mul_f64_e32 v[10:11], v[86:87], v[45:46]
	v_fma_f64 v[120:121], v[56:57], v[43:44], -v[10:11]
	v_mul_u32_u24_e32 v10, 0xcccd, v124
	s_delay_alu instid0(VALU_DEP_1) | instskip(NEXT) | instid1(VALU_DEP_1)
	v_lshrrev_b32_e32 v37, 19, v10
	v_mul_lo_u16 v10, v37, 10
	s_delay_alu instid0(VALU_DEP_1) | instskip(NEXT) | instid1(VALU_DEP_1)
	v_sub_nc_u16 v10, v183, v10
	v_and_b32_e32 v38, 0xffff, v10
	s_delay_alu instid0(VALU_DEP_1) | instskip(NEXT) | instid1(VALU_DEP_1)
	v_mul_u32_u24_e32 v10, 5, v38
	v_lshlrev_b32_e32 v122, 4, v10
	s_clause 0x1
	global_load_b128 v[43:46], v122, s[4:5]
	global_load_b128 v[56:59], v122, s[4:5] offset:16
	s_wait_loadcnt 0x1
	v_mul_f64_e32 v[10:11], v[54:55], v[45:46]
	s_delay_alu instid0(VALU_DEP_1) | instskip(SKIP_1) | instid1(VALU_DEP_1)
	v_fma_f64 v[18:19], v[84:85], v[43:44], v[10:11]
	v_mul_f64_e32 v[10:11], v[84:85], v[45:46]
	v_fma_f64 v[84:85], v[54:55], v[43:44], -v[10:11]
	ds_load_2addr_b64 v[43:46], v153 offset0:64 offset1:160
	s_wait_dscnt 0x0
	v_mul_f64_e32 v[10:11], v[45:46], v[41:42]
	s_delay_alu instid0(VALU_DEP_1) | instskip(SKIP_1) | instid1(VALU_DEP_1)
	v_fma_f64 v[50:51], v[82:83], v[39:40], v[10:11]
	v_mul_f64_e32 v[10:11], v[82:83], v[41:42]
	v_fma_f64 v[10:11], v[45:46], v[39:40], -v[10:11]
	s_wait_loadcnt 0x0
	v_mul_f64_e32 v[39:40], v[43:44], v[58:59]
	s_delay_alu instid0(VALU_DEP_1) | instskip(SKIP_1) | instid1(VALU_DEP_1)
	v_fma_f64 v[82:83], v[80:81], v[56:57], v[39:40]
	v_mul_f64_e32 v[39:40], v[80:81], v[58:59]
	v_fma_f64 v[80:81], v[43:44], v[56:57], -v[39:40]
	ds_load_2addr_b64 v[39:42], v155 offset0:64 offset1:160
	s_wait_dscnt 0x0
	v_mul_f64_e32 v[43:44], v[39:40], v[130:131]
	s_delay_alu instid0(VALU_DEP_1) | instskip(SKIP_1) | instid1(VALU_DEP_1)
	v_fma_f64 v[190:191], v[76:77], v[128:129], v[43:44]
	v_mul_f64_e32 v[43:44], v[76:77], v[130:131]
	v_fma_f64 v[86:87], v[39:40], v[128:129], -v[43:44]
	s_clause 0x1
	global_load_b128 v[43:46], v122, s[4:5] offset:32
	global_load_b128 v[54:57], v122, s[4:5] offset:48
	s_wait_loadcnt 0x1
	v_mul_f64_e32 v[39:40], v[41:42], v[45:46]
	s_delay_alu instid0(VALU_DEP_1) | instskip(SKIP_1) | instid1(VALU_DEP_1)
	v_fma_f64 v[128:129], v[78:79], v[43:44], v[39:40]
	v_mul_f64_e32 v[39:40], v[78:79], v[45:46]
	v_fma_f64 v[76:77], v[41:42], v[43:44], -v[39:40]
	s_clause 0x1
	global_load_b128 v[39:42], v47, s[4:5]
	global_load_b128 v[43:46], v30, s[4:5] offset:64
	ds_load_2addr_b64 v[58:61], v219 offset1:96
	s_wait_loadcnt_dscnt 0x0
	v_mul_f64_e32 v[78:79], v[60:61], v[45:46]
	v_mul_f64_e32 v[45:46], v[74:75], v[45:46]
	s_delay_alu instid0(VALU_DEP_2) | instskip(NEXT) | instid1(VALU_DEP_2)
	v_fma_f64 v[130:131], v[74:75], v[43:44], v[78:79]
	v_fma_f64 v[60:61], v[60:61], v[43:44], -v[45:46]
	v_mul_f64_e32 v[43:44], v[58:59], v[56:57]
	s_delay_alu instid0(VALU_DEP_2) | instskip(NEXT) | instid1(VALU_DEP_2)
	v_add_f64_e32 v[26:27], v[10:11], v[60:61]
	v_fma_f64 v[74:75], v[72:73], v[54:55], v[43:44]
	v_mul_f64_e32 v[43:44], v[72:73], v[56:57]
	s_delay_alu instid0(VALU_DEP_1) | instskip(SKIP_3) | instid1(VALU_DEP_1)
	v_fma_f64 v[72:73], v[58:59], v[54:55], -v[43:44]
	ds_load_2addr_b64 v[43:46], v220 offset0:128 offset1:224
	s_wait_dscnt 0x0
	v_mul_f64_e32 v[54:55], v[43:44], v[188:189]
	v_fma_f64 v[58:59], v[68:69], v[186:187], v[54:55]
	v_mul_f64_e32 v[54:55], v[68:69], v[188:189]
	s_delay_alu instid0(VALU_DEP_1) | instskip(SKIP_3) | instid1(VALU_DEP_1)
	v_fma_f64 v[78:79], v[43:44], v[186:187], -v[54:55]
	global_load_b128 v[54:57], v122, s[4:5] offset:64
	s_wait_loadcnt 0x0
	v_mul_f64_e32 v[43:44], v[45:46], v[56:57]
	v_fma_f64 v[186:187], v[70:71], v[54:55], v[43:44]
	v_mul_f64_e32 v[43:44], v[70:71], v[56:57]
	ds_load_b64 v[188:189], v133
	ds_load_b64 v[192:193], v137
	;; [unrolled: 1-line block ×4, first 2 shown]
	v_fma_f64 v[68:69], v[45:46], v[54:55], -v[43:44]
	s_clause 0x1
	global_load_b128 v[43:46], v30, s[4:5]
	global_load_b128 v[54:57], v30, s[4:5] offset:16
	v_and_b32_e32 v30, 0xffff, v35
	v_lshlrev_b32_e32 v35, 3, v36
	s_delay_alu instid0(VALU_DEP_2) | instskip(NEXT) | instid1(VALU_DEP_1)
	v_mul_u32_u24_e32 v30, 0x1e0, v30
	v_add3_u32 v147, 0, v30, v35
	v_add_f64_e32 v[35:36], v[118:119], v[62:63]
	s_delay_alu instid0(VALU_DEP_1) | instskip(SKIP_1) | instid1(VALU_DEP_1)
	v_fma_f64 v[35:36], v[35:36], -0.5, v[28:29]
	v_add_f64_e32 v[28:29], v[28:29], v[118:119]
	v_add_f64_e32 v[28:29], v[28:29], v[62:63]
	v_add_f64_e64 v[62:63], v[118:119], -v[62:63]
	s_wait_loadcnt_dscnt 0x103
	v_mul_f64_e32 v[194:195], v[188:189], v[45:46]
	v_mul_f64_e32 v[45:46], v[52:53], v[45:46]
	s_delay_alu instid0(VALU_DEP_2) | instskip(NEXT) | instid1(VALU_DEP_2)
	v_fma_f64 v[194:195], v[52:53], v[43:44], v[194:195]
	v_fma_f64 v[52:53], v[188:189], v[43:44], -v[45:46]
	s_wait_loadcnt_dscnt 0x2
	v_mul_f64_e32 v[43:44], v[192:193], v[56:57]
	s_delay_alu instid0(VALU_DEP_2) | instskip(NEXT) | instid1(VALU_DEP_2)
	v_fma_f64 v[26:27], v[26:27], -0.5, v[52:53]
	v_fma_f64 v[188:189], v[48:49], v[54:55], v[43:44]
	v_mul_f64_e32 v[43:44], v[48:49], v[56:57]
	v_add_f64_e32 v[56:57], v[50:51], v[130:131]
	s_delay_alu instid0(VALU_DEP_2)
	v_fma_f64 v[47:48], v[192:193], v[54:55], -v[43:44]
	ds_load_2addr_stride64_b64 v[43:46], v135 offset1:9
	v_fma_f64 v[56:57], v[56:57], -0.5, v[194:195]
	s_wait_dscnt 0x0
	v_mul_f64_e32 v[54:55], v[45:46], v[41:42]
	v_mul_f64_e32 v[41:42], v[66:67], v[41:42]
	s_delay_alu instid0(VALU_DEP_2) | instskip(NEXT) | instid1(VALU_DEP_2)
	v_fma_f64 v[54:55], v[66:67], v[39:40], v[54:55]
	v_fma_f64 v[66:67], v[45:46], v[39:40], -v[41:42]
	v_add_f64_e32 v[39:40], v[188:189], v[0:1]
	v_add_f64_e32 v[45:46], v[47:48], v[2:3]
	;; [unrolled: 1-line block ×3, first 2 shown]
	v_add_f64_e64 v[188:189], v[188:189], -v[0:1]
	s_delay_alu instid0(VALU_DEP_4) | instskip(NEXT) | instid1(VALU_DEP_4)
	v_fma_f64 v[39:40], v[39:40], -0.5, v[64:65]
	v_fma_f64 v[64:65], v[45:46], -0.5, v[43:44]
	v_add_f64_e32 v[45:46], v[194:195], v[50:51]
	v_add_f64_e64 v[49:50], v[50:51], -v[130:131]
	v_add_f64_e64 v[194:195], v[10:11], -v[60:61]
	v_add_f64_e32 v[43:44], v[43:44], v[47:48]
	v_add_f64_e64 v[47:48], v[47:48], -v[2:3]
	v_add_f64_e32 v[41:42], v[41:42], v[0:1]
	v_add_f64_e32 v[45:46], v[45:46], v[130:131]
	s_wait_alu 0xfffe
	v_fma_f64 v[196:197], v[49:50], s[2:3], v[26:27]
	v_fma_f64 v[198:199], v[194:195], s[6:7], v[56:57]
	ds_load_b64 v[130:131], v149
	ds_load_b64 v[192:193], v151
	v_fma_f64 v[202:203], v[47:48], s[6:7], v[39:40]
	global_wb scope:SCOPE_SE
	s_wait_dscnt 0x0
	s_barrier_signal -1
	s_barrier_wait -1
	global_inv scope:SCOPE_SE
	v_add_f64_e32 v[243:244], v[43:44], v[2:3]
	v_add_f64_e32 v[221:222], v[41:42], v[45:46]
	v_mul_f64_e32 v[200:201], s[6:7], v[196:197]
	v_mul_f64_e32 v[0:1], 0.5, v[196:197]
	s_delay_alu instid0(VALU_DEP_2) | instskip(NEXT) | instid1(VALU_DEP_2)
	v_fma_f64 v[200:201], v[198:199], 0.5, v[200:201]
	v_fma_f64 v[196:197], v[198:199], s[2:3], v[0:1]
	v_fma_f64 v[198:199], v[188:189], s[2:3], v[64:65]
	;; [unrolled: 1-line block ×3, first 2 shown]
	s_delay_alu instid0(VALU_DEP_4) | instskip(NEXT) | instid1(VALU_DEP_3)
	v_add_f64_e32 v[223:224], v[202:203], v[200:201]
	v_add_f64_e32 v[249:250], v[198:199], v[196:197]
	ds_store_2addr_b64 v146, v[221:222], v[223:224] offset1:10
	v_fma_f64 v[221:222], v[49:50], s[6:7], v[26:27]
	v_fma_f64 v[26:27], v[47:48], s[2:3], v[39:40]
	;; [unrolled: 1-line block ×3, first 2 shown]
	v_add_f64_e64 v[39:40], v[41:42], -v[45:46]
	v_add_f64_e64 v[50:51], v[120:121], -v[108:109]
	v_mul_f64_e32 v[41:42], s[6:7], v[221:222]
	v_mul_f64_e32 v[188:189], -0.5, v[221:222]
	s_delay_alu instid0(VALU_DEP_2) | instskip(NEXT) | instid1(VALU_DEP_2)
	v_fma_f64 v[41:42], v[48:49], -0.5, v[41:42]
	v_fma_f64 v[48:49], v[48:49], s[2:3], v[188:189]
	s_delay_alu instid0(VALU_DEP_2) | instskip(SKIP_2) | instid1(VALU_DEP_4)
	v_add_f64_e32 v[45:46], v[26:27], v[41:42]
	v_add_f64_e64 v[26:27], v[26:27], -v[41:42]
	v_add_f64_e64 v[41:42], v[110:111], -v[106:107]
	v_add_f64_e32 v[221:222], v[64:65], v[48:49]
	v_add_f64_e64 v[48:49], v[64:65], -v[48:49]
	v_add_f64_e32 v[64:65], v[120:121], v[108:109]
	ds_store_2addr_b64 v146, v[45:46], v[39:40] offset0:20 offset1:30
	v_add_f64_e64 v[39:40], v[202:203], -v[200:201]
	v_fma_f64 v[64:65], v[64:65], -0.5, v[130:131]
	ds_store_2addr_b64 v146, v[39:40], v[26:27] offset0:40 offset1:50
	v_add_f64_e32 v[26:27], v[54:55], v[14:15]
	v_add_f64_e32 v[39:40], v[14:15], v[22:23]
	v_add_f64_e64 v[14:15], v[14:15], -v[22:23]
	s_delay_alu instid0(VALU_DEP_3) | instskip(NEXT) | instid1(VALU_DEP_3)
	v_add_f64_e32 v[22:23], v[26:27], v[22:23]
	v_fma_f64 v[26:27], v[39:40], -0.5, v[54:55]
	v_add_f64_e32 v[39:40], v[110:111], v[106:107]
	v_fma_f64 v[54:55], v[50:51], s[6:7], v[35:36]
	s_delay_alu instid0(VALU_DEP_4) | instskip(NEXT) | instid1(VALU_DEP_4)
	v_add_f64_e32 v[56:57], v[28:29], v[22:23]
	v_fma_f64 v[200:201], v[41:42], s[6:7], v[26:27]
	s_delay_alu instid0(VALU_DEP_4) | instskip(SKIP_2) | instid1(VALU_DEP_3)
	v_fma_f64 v[39:40], v[39:40], -0.5, v[66:67]
	v_fma_f64 v[223:224], v[41:42], s[2:3], v[26:27]
	v_add_f64_e64 v[22:23], v[28:29], -v[22:23]
	v_fma_f64 v[194:195], v[14:15], s[2:3], v[39:40]
	s_delay_alu instid0(VALU_DEP_1) | instskip(NEXT) | instid1(VALU_DEP_1)
	v_mul_f64_e32 v[45:46], s[6:7], v[194:195]
	v_fma_f64 v[45:46], v[200:201], 0.5, v[45:46]
	s_delay_alu instid0(VALU_DEP_1) | instskip(SKIP_3) | instid1(VALU_DEP_2)
	v_add_f64_e32 v[202:203], v[54:55], v[45:46]
	ds_store_2addr_b64 v147, v[56:57], v[202:203] offset1:10
	v_fma_f64 v[202:203], v[14:15], s[6:7], v[39:40]
	v_fma_f64 v[14:15], v[50:51], s[2:3], v[35:36]
	v_mul_f64_e32 v[26:27], s[6:7], v[202:203]
	s_delay_alu instid0(VALU_DEP_1) | instskip(NEXT) | instid1(VALU_DEP_1)
	v_fma_f64 v[26:27], v[223:224], -0.5, v[26:27]
	v_add_f64_e32 v[28:29], v[14:15], v[26:27]
	v_add_f64_e64 v[14:15], v[14:15], -v[26:27]
	v_add_f64_e64 v[26:27], v[104:105], -v[100:101]
	ds_store_2addr_b64 v147, v[28:29], v[22:23] offset0:20 offset1:30
	v_add_f64_e64 v[22:23], v[54:55], -v[45:46]
	ds_store_2addr_b64 v147, v[22:23], v[14:15] offset0:40 offset1:50
	v_add_f64_e32 v[14:15], v[16:17], v[6:7]
	v_add_f64_e32 v[22:23], v[6:7], v[12:13]
	v_add_f64_e64 v[6:7], v[6:7], -v[12:13]
	s_delay_alu instid0(VALU_DEP_3) | instskip(NEXT) | instid1(VALU_DEP_3)
	v_add_f64_e32 v[12:13], v[14:15], v[12:13]
	v_fma_f64 v[14:15], v[22:23], -0.5, v[16:17]
	v_mul_u32_u24_e32 v16, 0x1e0, v33
	v_lshlrev_b32_e32 v17, 3, v34
	v_add_f64_e32 v[22:23], v[24:25], v[98:99]
	v_add_f64_e64 v[33:34], v[112:113], -v[88:89]
	s_delay_alu instid0(VALU_DEP_3)
	v_add3_u32 v212, 0, v16, v17
	v_add_f64_e32 v[16:17], v[98:99], v[114:115]
	v_fma_f64 v[227:228], v[26:27], s[6:7], v[14:15]
	v_fma_f64 v[231:232], v[26:27], s[2:3], v[14:15]
	v_add_f64_e64 v[26:27], v[94:95], -v[90:91]
	v_add_f64_e32 v[22:23], v[22:23], v[114:115]
	v_fma_f64 v[16:17], v[16:17], -0.5, v[24:25]
	v_add_f64_e32 v[24:25], v[104:105], v[100:101]
	s_delay_alu instid0(VALU_DEP_3) | instskip(SKIP_4) | instid1(VALU_DEP_1)
	v_add_f64_e32 v[39:40], v[22:23], v[12:13]
	v_add_f64_e64 v[12:13], v[22:23], -v[12:13]
	v_add_f64_e64 v[22:23], v[86:87], -v[78:79]
	v_fma_f64 v[35:36], v[33:34], s[6:7], v[16:17]
	v_fma_f64 v[24:25], v[24:25], -0.5, v[102:103]
	v_fma_f64 v[229:230], v[6:7], s[6:7], v[24:25]
	v_fma_f64 v[225:226], v[6:7], s[2:3], v[24:25]
	;; [unrolled: 1-line block ×3, first 2 shown]
	s_delay_alu instid0(VALU_DEP_3) | instskip(NEXT) | instid1(VALU_DEP_3)
	v_mul_f64_e32 v[14:15], s[6:7], v[229:230]
	v_mul_f64_e32 v[28:29], s[6:7], v[225:226]
	s_delay_alu instid0(VALU_DEP_2) | instskip(NEXT) | instid1(VALU_DEP_2)
	v_fma_f64 v[14:15], v[231:232], -0.5, v[14:15]
	v_fma_f64 v[28:29], v[227:228], 0.5, v[28:29]
	s_delay_alu instid0(VALU_DEP_2) | instskip(SKIP_2) | instid1(VALU_DEP_4)
	v_add_f64_e32 v[16:17], v[6:7], v[14:15]
	v_add_f64_e64 v[6:7], v[6:7], -v[14:15]
	v_add_f64_e64 v[14:15], v[190:191], -v[58:59]
	v_add_f64_e32 v[41:42], v[35:36], v[28:29]
	ds_store_2addr_b64 v212, v[16:17], v[12:13] offset0:20 offset1:30
	v_add_f64_e64 v[12:13], v[35:36], -v[28:29]
	v_add_f64_e32 v[16:17], v[20:21], v[92:93]
	ds_store_2addr_b64 v212, v[39:40], v[41:42] offset1:10
	ds_store_2addr_b64 v212, v[12:13], v[6:7] offset0:40 offset1:50
	v_add_f64_e32 v[12:13], v[190:191], v[58:59]
	v_add_f64_e32 v[6:7], v[4:5], v[190:191]
	;; [unrolled: 1-line block ×3, first 2 shown]
	s_delay_alu instid0(VALU_DEP_3) | instskip(SKIP_3) | instid1(VALU_DEP_2)
	v_fma_f64 v[4:5], v[12:13], -0.5, v[4:5]
	v_mul_u32_u24_e32 v12, 0x1e0, v31
	v_lshlrev_b32_e32 v13, 3, v32
	v_add_f64_e32 v[6:7], v[6:7], v[58:59]
	v_add3_u32 v213, 0, v12, v13
	v_add_f64_e32 v[12:13], v[92:93], v[116:117]
	v_fma_f64 v[233:234], v[22:23], s[6:7], v[4:5]
	v_fma_f64 v[237:238], v[22:23], s[2:3], v[4:5]
	v_add_f64_e64 v[22:23], v[80:81], -v[72:73]
	v_add_f64_e32 v[30:31], v[16:17], v[6:7]
	v_add_f64_e64 v[4:5], v[16:17], -v[6:7]
	v_add_f64_e32 v[16:17], v[76:77], v[68:69]
	v_fma_f64 v[12:13], v[12:13], -0.5, v[20:21]
	v_add_f64_e32 v[20:21], v[86:87], v[78:79]
	s_delay_alu instid0(VALU_DEP_3) | instskip(NEXT) | instid1(VALU_DEP_3)
	v_fma_f64 v[16:17], v[16:17], -0.5, v[84:85]
	v_fma_f64 v[28:29], v[26:27], s[6:7], v[12:13]
	s_delay_alu instid0(VALU_DEP_3) | instskip(SKIP_1) | instid1(VALU_DEP_2)
	v_fma_f64 v[20:21], v[20:21], -0.5, v[96:97]
	v_fma_f64 v[12:13], v[26:27], s[2:3], v[12:13]
	v_fma_f64 v[235:236], v[14:15], s[6:7], v[20:21]
	;; [unrolled: 1-line block ×3, first 2 shown]
	s_delay_alu instid0(VALU_DEP_2) | instskip(NEXT) | instid1(VALU_DEP_2)
	v_mul_f64_e32 v[6:7], s[6:7], v[235:236]
	v_mul_f64_e32 v[24:25], s[6:7], v[190:191]
	s_delay_alu instid0(VALU_DEP_2) | instskip(NEXT) | instid1(VALU_DEP_2)
	v_fma_f64 v[6:7], v[237:238], -0.5, v[6:7]
	v_fma_f64 v[24:25], v[233:234], 0.5, v[24:25]
	s_delay_alu instid0(VALU_DEP_2) | instskip(SKIP_2) | instid1(VALU_DEP_4)
	v_add_f64_e32 v[14:15], v[12:13], v[6:7]
	v_add_f64_e64 v[6:7], v[12:13], -v[6:7]
	v_add_f64_e64 v[12:13], v[128:129], -v[186:187]
	v_add_f64_e32 v[32:33], v[28:29], v[24:25]
	ds_store_2addr_b64 v213, v[14:15], v[4:5] offset0:20 offset1:30
	v_add_f64_e64 v[4:5], v[28:29], -v[24:25]
	v_mul_u32_u24_e32 v14, 0x1e0, v37
	v_lshlrev_b32_e32 v15, 3, v38
	v_fma_f64 v[239:240], v[12:13], s[6:7], v[16:17]
	ds_store_2addr_b64 v213, v[30:31], v[32:33] offset1:10
	v_add3_u32 v214, 0, v14, v15
	v_add_f64_e32 v[14:15], v[82:83], v[74:75]
	ds_store_2addr_b64 v213, v[4:5], v[6:7] offset0:40 offset1:50
	v_add_f64_e32 v[6:7], v[128:129], v[186:187]
	v_add_f64_e32 v[4:5], v[18:19], v[128:129]
	v_fma_f64 v[128:129], v[12:13], s[2:3], v[16:17]
	v_fma_f64 v[14:15], v[14:15], -0.5, v[8:9]
	v_add_f64_e32 v[8:9], v[8:9], v[82:83]
	v_fma_f64 v[6:7], v[6:7], -0.5, v[18:19]
	v_add_f64_e64 v[18:19], v[76:77], -v[68:69]
	v_add_f64_e32 v[4:5], v[4:5], v[186:187]
	v_mul_f64_e32 v[20:21], s[6:7], v[128:129]
	v_fma_f64 v[12:13], v[22:23], s[2:3], v[14:15]
	v_add_f64_e32 v[8:9], v[8:9], v[74:75]
	v_fma_f64 v[24:25], v[22:23], s[6:7], v[14:15]
	v_fma_f64 v[186:187], v[18:19], s[6:7], v[6:7]
	;; [unrolled: 1-line block ×3, first 2 shown]
	v_mul_f64_e32 v[6:7], s[6:7], v[239:240]
	v_add_f64_e32 v[26:27], v[8:9], v[4:5]
	v_add_f64_e64 v[4:5], v[8:9], -v[4:5]
	v_fma_f64 v[20:21], v[186:187], 0.5, v[20:21]
	s_delay_alu instid0(VALU_DEP_4) | instskip(NEXT) | instid1(VALU_DEP_2)
	v_fma_f64 v[6:7], v[241:242], -0.5, v[6:7]
	v_add_f64_e32 v[28:29], v[24:25], v[20:21]
	s_delay_alu instid0(VALU_DEP_2)
	v_add_f64_e32 v[8:9], v[12:13], v[6:7]
	v_add_f64_e64 v[6:7], v[12:13], -v[6:7]
	ds_store_2addr_b64 v214, v[26:27], v[28:29] offset1:10
	ds_store_2addr_b64 v214, v[8:9], v[4:5] offset0:20 offset1:30
	v_add_f64_e64 v[4:5], v[24:25], -v[20:21]
	ds_store_2addr_b64 v214, v[4:5], v[6:7] offset0:40 offset1:50
	v_add_f64_e32 v[4:5], v[52:53], v[10:11]
	global_wb scope:SCOPE_SE
	s_wait_dscnt 0x0
	s_barrier_signal -1
	s_barrier_wait -1
	global_inv scope:SCOPE_SE
	v_add_f64_e32 v[245:246], v[4:5], v[60:61]
	ds_load_b64 v[56:57], v149
	ds_load_b64 v[54:55], v151
	;; [unrolled: 1-line block ×6, first 2 shown]
	ds_load_2addr_stride64_b64 v[0:3], v135 offset1:9
	ds_load_2addr_b64 v[16:19], v153 offset0:64 offset1:160
	ds_load_2addr_b64 v[44:47], v218 offset0:128 offset1:224
	ds_load_2addr_b64 v[8:11], v219 offset1:96
	ds_load_2addr_stride64_b64 v[20:23], v157 offset0:13 offset1:16
	ds_load_2addr_b64 v[40:43], v139 offset1:96
	ds_load_2addr_b64 v[36:39], v165 offset0:64 offset1:160
	ds_load_2addr_b64 v[32:35], v163 offset0:32 offset1:128
	;; [unrolled: 1-line block ×6, first 2 shown]
	global_wb scope:SCOPE_SE
	s_wait_dscnt 0x0
	s_barrier_signal -1
	s_barrier_wait -1
	global_inv scope:SCOPE_SE
	v_add_f64_e64 v[188:189], v[243:244], -v[245:246]
	v_add_f64_e32 v[247:248], v[243:244], v[245:246]
	ds_store_2addr_b64 v146, v[221:222], v[188:189] offset0:20 offset1:30
	v_add_f64_e64 v[188:189], v[198:199], -v[196:197]
	ds_store_2addr_b64 v146, v[247:248], v[249:250] offset1:10
	ds_store_2addr_b64 v146, v[188:189], v[48:49] offset0:40 offset1:50
	v_add_f64_e32 v[48:49], v[66:67], v[110:111]
	v_add_f64_e32 v[66:67], v[130:131], v[120:121]
	s_delay_alu instid0(VALU_DEP_2) | instskip(NEXT) | instid1(VALU_DEP_2)
	v_add_f64_e32 v[48:49], v[48:49], v[106:107]
	v_add_f64_e32 v[66:67], v[66:67], v[108:109]
	v_fma_f64 v[108:109], v[62:63], s[2:3], v[64:65]
	v_fma_f64 v[62:63], v[62:63], s[6:7], v[64:65]
	v_mul_f64_e32 v[64:65], -0.5, v[202:203]
	v_mul_f64_e32 v[106:107], 0.5, v[194:195]
	v_add_f64_e32 v[110:111], v[66:67], v[48:49]
	v_add_f64_e64 v[48:49], v[66:67], -v[48:49]
	s_delay_alu instid0(VALU_DEP_4) | instskip(NEXT) | instid1(VALU_DEP_4)
	v_fma_f64 v[64:65], v[223:224], s[2:3], v[64:65]
	v_fma_f64 v[106:107], v[200:201], s[2:3], v[106:107]
	s_delay_alu instid0(VALU_DEP_2) | instskip(SKIP_2) | instid1(VALU_DEP_4)
	v_add_f64_e32 v[66:67], v[62:63], v[64:65]
	v_add_f64_e64 v[62:63], v[62:63], -v[64:65]
	v_add_f64_e32 v[64:65], v[192:193], v[112:113]
	v_add_f64_e32 v[118:119], v[108:109], v[106:107]
	ds_store_2addr_b64 v147, v[66:67], v[48:49] offset0:20 offset1:30
	v_add_f64_e64 v[48:49], v[108:109], -v[106:107]
	v_add_f64_e64 v[66:67], v[98:99], -v[114:115]
	v_add_f64_e32 v[64:65], v[64:65], v[88:89]
	ds_store_2addr_b64 v147, v[110:111], v[118:119] offset1:10
	ds_store_2addr_b64 v147, v[48:49], v[62:63] offset0:40 offset1:50
	v_add_f64_e32 v[62:63], v[112:113], v[88:89]
	v_add_f64_e32 v[48:49], v[102:103], v[104:105]
	v_mul_f64_e32 v[88:89], 0.5, v[225:226]
	s_delay_alu instid0(VALU_DEP_3) | instskip(NEXT) | instid1(VALU_DEP_3)
	v_fma_f64 v[62:63], v[62:63], -0.5, v[192:193]
	v_add_f64_e32 v[48:49], v[48:49], v[100:101]
	s_delay_alu instid0(VALU_DEP_3) | instskip(NEXT) | instid1(VALU_DEP_3)
	v_fma_f64 v[88:89], v[227:228], s[2:3], v[88:89]
	v_fma_f64 v[98:99], v[66:67], s[2:3], v[62:63]
	;; [unrolled: 1-line block ×3, first 2 shown]
	v_mul_f64_e32 v[66:67], -0.5, v[229:230]
	v_add_f64_e32 v[100:101], v[64:65], v[48:49]
	v_add_f64_e64 v[48:49], v[64:65], -v[48:49]
	v_add_f64_e32 v[102:103], v[98:99], v[88:89]
	s_delay_alu instid0(VALU_DEP_4)
	v_fma_f64 v[66:67], v[231:232], s[2:3], v[66:67]
	ds_store_2addr_b64 v212, v[100:101], v[102:103] offset1:10
	v_add_f64_e32 v[64:65], v[62:63], v[66:67]
	v_add_f64_e64 v[62:63], v[62:63], -v[66:67]
	v_add_f64_e64 v[66:67], v[92:93], -v[116:117]
	ds_store_2addr_b64 v212, v[64:65], v[48:49] offset0:20 offset1:30
	v_add_f64_e64 v[48:49], v[98:99], -v[88:89]
	v_add_f64_e32 v[64:65], v[122:123], v[94:95]
	ds_store_2addr_b64 v212, v[48:49], v[62:63] offset0:40 offset1:50
	v_add_f64_e32 v[62:63], v[94:95], v[90:91]
	v_add_f64_e32 v[48:49], v[96:97], v[86:87]
	v_add_f64_e32 v[64:65], v[64:65], v[90:91]
	s_delay_alu instid0(VALU_DEP_3) | instskip(NEXT) | instid1(VALU_DEP_3)
	v_fma_f64 v[62:63], v[62:63], -0.5, v[122:123]
	v_add_f64_e32 v[48:49], v[48:49], v[78:79]
	v_mul_f64_e32 v[78:79], 0.5, v[190:191]
	s_delay_alu instid0(VALU_DEP_3) | instskip(SKIP_2) | instid1(VALU_DEP_4)
	v_fma_f64 v[86:87], v[66:67], s[2:3], v[62:63]
	v_fma_f64 v[62:63], v[66:67], s[6:7], v[62:63]
	v_mul_f64_e32 v[66:67], -0.5, v[235:236]
	v_fma_f64 v[78:79], v[233:234], s[2:3], v[78:79]
	v_add_f64_e32 v[88:89], v[64:65], v[48:49]
	v_add_f64_e64 v[48:49], v[64:65], -v[48:49]
	s_delay_alu instid0(VALU_DEP_4) | instskip(NEXT) | instid1(VALU_DEP_4)
	v_fma_f64 v[66:67], v[237:238], s[2:3], v[66:67]
	v_add_f64_e32 v[90:91], v[86:87], v[78:79]
	s_delay_alu instid0(VALU_DEP_2)
	v_add_f64_e32 v[64:65], v[62:63], v[66:67]
	v_add_f64_e64 v[62:63], v[62:63], -v[66:67]
	v_add_f64_e64 v[66:67], v[82:83], -v[74:75]
	ds_store_2addr_b64 v213, v[88:89], v[90:91] offset1:10
	ds_store_2addr_b64 v213, v[64:65], v[48:49] offset0:20 offset1:30
	v_add_f64_e64 v[48:49], v[86:87], -v[78:79]
	v_add_f64_e32 v[64:65], v[70:71], v[80:81]
	ds_store_2addr_b64 v213, v[48:49], v[62:63] offset0:40 offset1:50
	v_add_f64_e32 v[62:63], v[80:81], v[72:73]
	v_add_f64_e32 v[48:49], v[84:85], v[76:77]
	;; [unrolled: 1-line block ×3, first 2 shown]
	s_delay_alu instid0(VALU_DEP_3) | instskip(NEXT) | instid1(VALU_DEP_3)
	v_fma_f64 v[62:63], v[62:63], -0.5, v[70:71]
	v_add_f64_e32 v[48:49], v[48:49], v[68:69]
	v_mul_f64_e32 v[68:69], 0.5, v[128:129]
	s_delay_alu instid0(VALU_DEP_3) | instskip(SKIP_2) | instid1(VALU_DEP_4)
	v_fma_f64 v[70:71], v[66:67], s[2:3], v[62:63]
	v_fma_f64 v[62:63], v[66:67], s[6:7], v[62:63]
	v_mul_f64_e32 v[66:67], -0.5, v[239:240]
	v_fma_f64 v[68:69], v[186:187], s[2:3], v[68:69]
	v_add_f64_e32 v[72:73], v[64:65], v[48:49]
	v_add_f64_e64 v[48:49], v[64:65], -v[48:49]
	s_delay_alu instid0(VALU_DEP_4) | instskip(NEXT) | instid1(VALU_DEP_4)
	v_fma_f64 v[66:67], v[241:242], s[2:3], v[66:67]
	v_add_f64_e32 v[74:75], v[70:71], v[68:69]
	s_delay_alu instid0(VALU_DEP_2)
	v_add_f64_e32 v[64:65], v[62:63], v[66:67]
	v_add_f64_e64 v[62:63], v[62:63], -v[66:67]
	ds_store_2addr_b64 v214, v[72:73], v[74:75] offset1:10
	ds_store_2addr_b64 v214, v[64:65], v[48:49] offset0:20 offset1:30
	v_add_f64_e64 v[48:49], v[70:71], -v[68:69]
	ds_store_2addr_b64 v214, v[48:49], v[62:63] offset0:40 offset1:50
	v_subrev_nc_u32_e32 v48, 60, v144
	v_mov_b32_e32 v49, 0
	global_wb scope:SCOPE_SE
	s_wait_dscnt 0x0
	s_barrier_signal -1
	s_barrier_wait -1
	v_cndmask_b32_e64 v122, v48, v144, s0
	global_inv scope:SCOPE_SE
	ds_load_2addr_b64 v[66:69], v218 offset0:128 offset1:224
	v_mul_i32_i24_e32 v48, 5, v122
	s_delay_alu instid0(VALU_DEP_1) | instskip(NEXT) | instid1(VALU_DEP_1)
	v_lshlrev_b64_e32 v[62:63], 4, v[48:49]
	v_add_co_u32 v114, s0, s4, v62
	s_wait_alu 0xf1ff
	s_delay_alu instid0(VALU_DEP_2)
	v_add_co_ci_u32_e64 v115, s0, s5, v63, s0
	v_cmp_lt_u32_e64 s0, 59, v144
	s_clause 0x1
	global_load_b128 v[62:65], v[114:115], off offset:848
	global_load_b128 v[86:89], v[114:115], off offset:832
	s_wait_loadcnt_dscnt 0x100
	v_mul_f64_e32 v[70:71], v[66:67], v[64:65]
	s_delay_alu instid0(VALU_DEP_1) | instskip(SKIP_1) | instid1(VALU_DEP_1)
	v_fma_f64 v[82:83], v[44:45], v[62:63], v[70:71]
	v_mul_f64_e32 v[44:45], v[44:45], v[64:65]
	v_fma_f64 v[106:107], v[66:67], v[62:63], -v[44:45]
	v_mul_lo_u16 v44, 0x89, v125
	s_delay_alu instid0(VALU_DEP_1) | instskip(NEXT) | instid1(VALU_DEP_1)
	v_lshrrev_b16 v128, 13, v44
	v_mul_lo_u16 v44, v128, 60
	s_delay_alu instid0(VALU_DEP_1) | instskip(NEXT) | instid1(VALU_DEP_1)
	v_sub_nc_u16 v44, v150, v44
	v_and_b32_e32 v129, 0xff, v44
	s_delay_alu instid0(VALU_DEP_1) | instskip(NEXT) | instid1(VALU_DEP_1)
	v_mul_u32_u24_e32 v44, 5, v129
	v_lshlrev_b32_e32 v104, 4, v44
	s_clause 0x1
	global_load_b128 v[64:67], v104, s[4:5] offset:848
	global_load_b128 v[70:73], v104, s[4:5] offset:864
	ds_load_2addr_b64 v[74:77], v139 offset1:96
	global_load_b128 v[100:103], v104, s[4:5] offset:816
	s_wait_loadcnt 0x2
	v_mul_f64_e32 v[44:45], v[68:69], v[66:67]
	s_delay_alu instid0(VALU_DEP_1) | instskip(SKIP_1) | instid1(VALU_DEP_1)
	v_fma_f64 v[62:63], v[46:47], v[64:65], v[44:45]
	v_mul_f64_e32 v[44:45], v[46:47], v[66:67]
	v_fma_f64 v[44:45], v[68:69], v[64:65], -v[44:45]
	global_load_b128 v[64:67], v104, s[4:5] offset:832
	s_wait_loadcnt_dscnt 0x0
	v_mul_f64_e32 v[46:47], v[74:75], v[66:67]
	s_delay_alu instid0(VALU_DEP_1) | instskip(SKIP_1) | instid1(VALU_DEP_1)
	v_fma_f64 v[118:119], v[40:41], v[64:65], v[46:47]
	v_mul_f64_e32 v[40:41], v[40:41], v[66:67]
	v_fma_f64 v[66:67], v[74:75], v[64:65], -v[40:41]
	v_mul_u32_u24_e32 v40, 0x8889, v126
	s_delay_alu instid0(VALU_DEP_1) | instskip(NEXT) | instid1(VALU_DEP_1)
	v_lshrrev_b32_e32 v125, 21, v40
	v_mul_lo_u16 v40, v125, 60
	s_delay_alu instid0(VALU_DEP_1) | instskip(NEXT) | instid1(VALU_DEP_1)
	v_sub_nc_u16 v40, v148, v40
	v_and_b32_e32 v126, 0xffff, v40
	s_delay_alu instid0(VALU_DEP_1) | instskip(NEXT) | instid1(VALU_DEP_1)
	v_mul_u32_u24_e32 v40, 5, v126
	v_lshlrev_b32_e32 v64, 4, v40
	s_clause 0x1
	global_load_b128 v[78:81], v64, s[4:5] offset:832
	global_load_b128 v[94:97], v64, s[4:5] offset:848
	s_wait_loadcnt 0x1
	v_mul_f64_e32 v[40:41], v[76:77], v[80:81]
	s_delay_alu instid0(VALU_DEP_1) | instskip(SKIP_1) | instid1(VALU_DEP_1)
	v_fma_f64 v[46:47], v[42:43], v[78:79], v[40:41]
	v_mul_f64_e32 v[40:41], v[42:43], v[80:81]
	v_fma_f64 v[40:41], v[76:77], v[78:79], -v[40:41]
	ds_load_2addr_b64 v[74:77], v165 offset0:64 offset1:160
	s_wait_dscnt 0x0
	v_mul_f64_e32 v[42:43], v[74:75], v[72:73]
	s_delay_alu instid0(VALU_DEP_1) | instskip(SKIP_1) | instid1(VALU_DEP_1)
	v_fma_f64 v[42:43], v[36:37], v[70:71], v[42:43]
	v_mul_f64_e32 v[36:37], v[36:37], v[72:73]
	v_fma_f64 v[70:71], v[74:75], v[70:71], -v[36:37]
	v_mul_u32_u24_e32 v36, 0x8889, v127
	s_delay_alu instid0(VALU_DEP_1) | instskip(NEXT) | instid1(VALU_DEP_1)
	v_lshrrev_b32_e32 v48, 21, v36
	v_mul_lo_u16 v36, v48, 60
	s_delay_alu instid0(VALU_DEP_1) | instskip(NEXT) | instid1(VALU_DEP_1)
	v_sub_nc_u16 v36, v175, v36
	v_and_b32_e32 v123, 0xffff, v36
	s_delay_alu instid0(VALU_DEP_1) | instskip(NEXT) | instid1(VALU_DEP_1)
	v_mul_u32_u24_e32 v36, 5, v123
	v_lshlrev_b32_e32 v84, 4, v36
	s_clause 0x1
	global_load_b128 v[72:75], v64, s[4:5] offset:864
	global_load_b128 v[78:81], v84, s[4:5] offset:800
	s_wait_loadcnt 0x1
	v_mul_f64_e32 v[36:37], v[76:77], v[74:75]
	s_delay_alu instid0(VALU_DEP_1) | instskip(SKIP_1) | instid1(VALU_DEP_1)
	v_fma_f64 v[36:37], v[38:39], v[72:73], v[36:37]
	v_mul_f64_e32 v[38:39], v[38:39], v[74:75]
	v_fma_f64 v[68:69], v[76:77], v[72:73], -v[38:39]
	s_clause 0x1
	global_load_b128 v[72:75], v64, s[4:5] offset:800
	global_load_b128 v[90:93], v64, s[4:5] offset:816
	ds_load_2addr_b64 v[108:111], v163 offset0:32 offset1:128
	s_wait_loadcnt_dscnt 0x100
	v_mul_f64_e32 v[38:39], v[108:109], v[74:75]
	s_delay_alu instid0(VALU_DEP_1) | instskip(SKIP_1) | instid1(VALU_DEP_1)
	v_fma_f64 v[38:39], v[32:33], v[72:73], v[38:39]
	v_mul_f64_e32 v[32:33], v[32:33], v[74:75]
	v_fma_f64 v[72:73], v[108:109], v[72:73], -v[32:33]
	v_mul_f64_e32 v[32:33], v[110:111], v[80:81]
	s_delay_alu instid0(VALU_DEP_1) | instskip(SKIP_1) | instid1(VALU_DEP_1)
	v_fma_f64 v[32:33], v[34:35], v[78:79], v[32:33]
	v_mul_f64_e32 v[34:35], v[34:35], v[80:81]
	v_fma_f64 v[64:65], v[110:111], v[78:79], -v[34:35]
	ds_load_2addr_b64 v[108:111], v161 offset0:128 offset1:224
	s_wait_loadcnt_dscnt 0x0
	v_mul_f64_e32 v[34:35], v[108:109], v[92:93]
	s_delay_alu instid0(VALU_DEP_1) | instskip(SKIP_1) | instid1(VALU_DEP_1)
	v_fma_f64 v[80:81], v[28:29], v[90:91], v[34:35]
	v_mul_f64_e32 v[28:29], v[28:29], v[92:93]
	v_fma_f64 v[78:79], v[108:109], v[90:91], -v[28:29]
	s_clause 0x1
	global_load_b128 v[90:93], v84, s[4:5] offset:816
	global_load_b128 v[186:189], v84, s[4:5] offset:832
	s_wait_loadcnt 0x1
	v_mul_f64_e32 v[28:29], v[110:111], v[92:93]
	s_delay_alu instid0(VALU_DEP_1) | instskip(SKIP_1) | instid1(VALU_DEP_1)
	v_fma_f64 v[76:77], v[30:31], v[90:91], v[28:29]
	v_mul_f64_e32 v[28:29], v[30:31], v[92:93]
	v_fma_f64 v[74:75], v[110:111], v[90:91], -v[28:29]
	ds_load_2addr_b64 v[28:31], v159 offset0:64 offset1:160
	s_wait_dscnt 0x0
	v_mul_f64_e32 v[34:35], v[28:29], v[96:97]
	s_delay_alu instid0(VALU_DEP_1) | instskip(SKIP_1) | instid1(VALU_DEP_1)
	v_fma_f64 v[92:93], v[24:25], v[94:95], v[34:35]
	v_mul_f64_e32 v[24:25], v[24:25], v[96:97]
	v_fma_f64 v[90:91], v[28:29], v[94:95], -v[24:25]
	s_clause 0x1
	global_load_b128 v[94:97], v84, s[4:5] offset:848
	global_load_b128 v[190:193], v84, s[4:5] offset:864
	s_wait_loadcnt 0x1
	v_mul_f64_e32 v[24:25], v[30:31], v[96:97]
	s_delay_alu instid0(VALU_DEP_1)
	v_fma_f64 v[98:99], v[26:27], v[94:95], v[24:25]
	v_mul_f64_e32 v[24:25], v[26:27], v[96:97]
	ds_load_2addr_stride64_b64 v[26:29], v157 offset0:13 offset1:16
	v_fma_f64 v[96:97], v[30:31], v[94:95], -v[24:25]
	s_wait_dscnt 0x0
	v_mul_f64_e32 v[24:25], v[28:29], v[102:103]
	s_delay_alu instid0(VALU_DEP_1) | instskip(SKIP_1) | instid1(VALU_DEP_1)
	v_fma_f64 v[112:113], v[22:23], v[100:101], v[24:25]
	v_mul_f64_e32 v[22:23], v[22:23], v[102:103]
	v_fma_f64 v[110:111], v[28:29], v[100:101], -v[22:23]
	v_mul_u32_u24_e32 v22, 0x8889, v124
	s_delay_alu instid0(VALU_DEP_1) | instskip(NEXT) | instid1(VALU_DEP_1)
	v_lshrrev_b32_e32 v24, 21, v22
	v_mul_lo_u16 v22, v24, 60
	s_delay_alu instid0(VALU_DEP_1) | instskip(SKIP_2) | instid1(VALU_DEP_3)
	v_sub_nc_u16 v22, v183, v22
	v_lshl_add_u32 v183, v181, 3, 0
	v_add_nc_u32_e32 v181, 0x2c00, v135
	v_and_b32_e32 v25, 0xffff, v22
	s_delay_alu instid0(VALU_DEP_1) | instskip(NEXT) | instid1(VALU_DEP_1)
	v_mul_u32_u24_e32 v22, 5, v25
	v_lshlrev_b32_e32 v34, 4, v22
	s_clause 0x1
	global_load_b128 v[28:31], v34, s[4:5] offset:800
	global_load_b128 v[100:103], v34, s[4:5] offset:816
	s_wait_loadcnt 0x1
	v_mul_f64_e32 v[22:23], v[26:27], v[30:31]
	s_delay_alu instid0(VALU_DEP_1) | instskip(SKIP_1) | instid1(VALU_DEP_1)
	v_fma_f64 v[22:23], v[20:21], v[28:29], v[22:23]
	v_mul_f64_e32 v[20:21], v[20:21], v[30:31]
	v_fma_f64 v[84:85], v[26:27], v[28:29], -v[20:21]
	ds_load_2addr_b64 v[26:29], v153 offset0:64 offset1:160
	s_wait_dscnt 0x0
	v_mul_f64_e32 v[20:21], v[28:29], v[88:89]
	s_delay_alu instid0(VALU_DEP_1) | instskip(SKIP_1) | instid1(VALU_DEP_1)
	v_fma_f64 v[20:21], v[18:19], v[86:87], v[20:21]
	v_mul_f64_e32 v[18:19], v[18:19], v[88:89]
	v_fma_f64 v[18:19], v[28:29], v[86:87], -v[18:19]
	s_wait_loadcnt 0x0
	v_mul_f64_e32 v[28:29], v[26:27], v[102:103]
	s_delay_alu instid0(VALU_DEP_1) | instskip(SKIP_1) | instid1(VALU_DEP_1)
	v_fma_f64 v[88:89], v[16:17], v[100:101], v[28:29]
	v_mul_f64_e32 v[16:17], v[16:17], v[102:103]
	v_fma_f64 v[86:87], v[26:27], v[100:101], -v[16:17]
	ds_load_2addr_b64 v[26:29], v155 offset0:64 offset1:160
	s_wait_dscnt 0x0
	v_mul_f64_e32 v[16:17], v[26:27], v[188:189]
	s_delay_alu instid0(VALU_DEP_1) | instskip(SKIP_1) | instid1(VALU_DEP_1)
	v_fma_f64 v[16:17], v[12:13], v[186:187], v[16:17]
	v_mul_f64_e32 v[12:13], v[12:13], v[188:189]
	v_fma_f64 v[102:103], v[26:27], v[186:187], -v[12:13]
	s_clause 0x1
	global_load_b128 v[186:189], v34, s[4:5] offset:832
	global_load_b128 v[194:197], v34, s[4:5] offset:848
	s_wait_loadcnt 0x1
	v_mul_f64_e32 v[12:13], v[28:29], v[188:189]
	s_delay_alu instid0(VALU_DEP_1) | instskip(SKIP_1) | instid1(VALU_DEP_1)
	v_fma_f64 v[12:13], v[14:15], v[186:187], v[12:13]
	v_mul_f64_e32 v[14:15], v[14:15], v[188:189]
	v_fma_f64 v[94:95], v[28:29], v[186:187], -v[14:15]
	s_clause 0x1
	global_load_b128 v[26:29], v104, s[4:5] offset:800
	global_load_b128 v[186:189], v[114:115], off offset:864
	ds_load_2addr_b64 v[198:201], v219 offset1:96
	s_wait_loadcnt_dscnt 0x200
	v_mul_f64_e32 v[30:31], v[198:199], v[196:197]
	s_delay_alu instid0(VALU_DEP_1) | instskip(SKIP_1) | instid1(VALU_DEP_1)
	v_fma_f64 v[104:105], v[8:9], v[194:195], v[30:31]
	v_mul_f64_e32 v[8:9], v[8:9], v[196:197]
	v_fma_f64 v[100:101], v[198:199], v[194:195], -v[8:9]
	v_lshl_add_u32 v194, v164, 3, 0
	s_wait_loadcnt 0x0
	v_mul_f64_e32 v[14:15], v[200:201], v[188:189]
	s_delay_alu instid0(VALU_DEP_1) | instskip(SKIP_1) | instid1(VALU_DEP_1)
	v_fma_f64 v[14:15], v[10:11], v[186:187], v[14:15]
	v_mul_f64_e32 v[10:11], v[10:11], v[188:189]
	v_fma_f64 v[10:11], v[200:201], v[186:187], -v[10:11]
	ds_load_2addr_b64 v[186:189], v220 offset0:128 offset1:224
	s_wait_dscnt 0x0
	v_mul_f64_e32 v[8:9], v[186:187], v[192:193]
	s_delay_alu instid0(VALU_DEP_1) | instskip(SKIP_1) | instid1(VALU_DEP_1)
	v_fma_f64 v[8:9], v[4:5], v[190:191], v[8:9]
	v_mul_f64_e32 v[4:5], v[4:5], v[192:193]
	v_fma_f64 v[116:117], v[186:187], v[190:191], -v[4:5]
	global_load_b128 v[190:193], v34, s[4:5] offset:864
	s_wait_loadcnt 0x0
	v_mul_f64_e32 v[4:5], v[188:189], v[192:193]
	s_delay_alu instid0(VALU_DEP_1) | instskip(SKIP_1) | instid1(VALU_DEP_1)
	v_fma_f64 v[30:31], v[6:7], v[190:191], v[4:5]
	v_mul_f64_e32 v[4:5], v[6:7], v[192:193]
	v_fma_f64 v[108:109], v[188:189], v[190:191], -v[4:5]
	s_clause 0x1
	global_load_b128 v[4:7], v[114:115], off offset:800
	global_load_b128 v[186:189], v[114:115], off offset:816
	ds_load_b64 v[34:35], v133
	ds_load_b64 v[114:115], v137
	;; [unrolled: 1-line block ×4, first 2 shown]
	s_wait_loadcnt_dscnt 0x103
	v_mul_f64_e32 v[190:191], v[34:35], v[6:7]
	v_mul_f64_e32 v[6:7], v[60:61], v[6:7]
	s_delay_alu instid0(VALU_DEP_2) | instskip(NEXT) | instid1(VALU_DEP_2)
	v_fma_f64 v[190:191], v[60:61], v[4:5], v[190:191]
	v_fma_f64 v[34:35], v[34:35], v[4:5], -v[6:7]
	s_wait_loadcnt_dscnt 0x2
	v_mul_f64_e32 v[4:5], v[114:115], v[188:189]
	s_delay_alu instid0(VALU_DEP_1) | instskip(SKIP_1) | instid1(VALU_DEP_2)
	v_fma_f64 v[60:61], v[58:59], v[186:187], v[4:5]
	v_mul_f64_e32 v[4:5], v[58:59], v[188:189]
	v_add_f64_e64 v[247:248], v[60:61], -v[82:83]
	s_delay_alu instid0(VALU_DEP_2)
	v_fma_f64 v[58:59], v[114:115], v[186:187], -v[4:5]
	ds_load_2addr_stride64_b64 v[4:7], v135 offset1:9
	ds_load_b64 v[199:200], v149
	ds_load_b64 v[201:202], v151
	global_wb scope:SCOPE_SE
	s_wait_dscnt 0x0
	s_barrier_signal -1
	s_barrier_wait -1
	global_inv scope:SCOPE_SE
	v_mul_f64_e32 v[114:115], v[6:7], v[28:29]
	s_delay_alu instid0(VALU_DEP_1) | instskip(SKIP_2) | instid1(VALU_DEP_2)
	v_fma_f64 v[114:115], v[2:3], v[26:27], v[114:115]
	v_mul_f64_e32 v[2:3], v[2:3], v[28:29]
	v_add_f64_e64 v[28:29], v[58:59], -v[106:107]
	v_fma_f64 v[195:196], v[6:7], v[26:27], -v[2:3]
	v_add_f64_e32 v[6:7], v[58:59], v[106:107]
	v_add_f64_e32 v[26:27], v[20:21], v[14:15]
	;; [unrolled: 1-line block ×3, first 2 shown]
	s_delay_alu instid0(VALU_DEP_3)
	v_fma_f64 v[197:198], v[6:7], -0.5, v[4:5]
	v_add_f64_e32 v[6:7], v[190:191], v[20:21]
	v_add_f64_e64 v[20:21], v[20:21], -v[14:15]
	v_add_f64_e32 v[4:5], v[4:5], v[58:59]
	v_add_f64_e64 v[58:59], v[18:19], -v[10:11]
	v_fma_f64 v[2:3], v[2:3], -0.5, v[0:1]
	v_add_f64_e32 v[0:1], v[0:1], v[60:61]
	v_fma_f64 v[212:213], v[247:248], s[2:3], v[197:198]
	v_add_f64_e32 v[6:7], v[6:7], v[14:15]
	v_fma_f64 v[14:15], v[26:27], -0.5, v[190:191]
	v_lshlrev_b32_e32 v26, 3, v122
	s_wait_alu 0xf1ff
	v_cndmask_b32_e64 v27, 0, 0xb40, s0
	v_fma_f64 v[192:193], v[28:29], s[6:7], v[2:3]
	v_add_f64_e32 v[0:1], v[0:1], v[82:83]
	v_fma_f64 v[2:3], v[28:29], s[2:3], v[2:3]
	v_add_f64_e64 v[28:29], v[66:67], -v[70:71]
	v_add3_u32 v153, 0, v27, v26
	v_add_f64_e32 v[26:27], v[18:19], v[10:11]
	v_add_f64_e32 v[249:250], v[4:5], v[106:107]
	s_delay_alu instid0(VALU_DEP_3) | instskip(SKIP_4) | instid1(VALU_DEP_1)
	v_add_nc_u32_e32 v155, 0x400, v153
	v_fma_f64 v[188:189], v[58:59], s[6:7], v[14:15]
	v_add_f64_e32 v[221:222], v[0:1], v[6:7]
	v_add_f64_e64 v[0:1], v[0:1], -v[6:7]
	v_fma_f64 v[26:27], v[26:27], -0.5, v[34:35]
	v_fma_f64 v[186:187], v[20:21], s[2:3], v[26:27]
	s_delay_alu instid0(VALU_DEP_1) | instskip(NEXT) | instid1(VALU_DEP_1)
	v_mul_f64_e32 v[190:191], s[6:7], v[186:187]
	v_fma_f64 v[190:191], v[188:189], 0.5, v[190:191]
	s_delay_alu instid0(VALU_DEP_1)
	v_add_f64_e32 v[223:224], v[192:193], v[190:191]
	ds_store_2addr_b64 v153, v[221:222], v[223:224] offset1:60
	v_fma_f64 v[221:222], v[20:21], s[6:7], v[26:27]
	v_fma_f64 v[223:224], v[58:59], s[2:3], v[14:15]
	v_add_f64_e32 v[26:27], v[66:67], v[70:71]
	v_add_f64_e32 v[20:21], v[56:57], v[112:113]
	v_add_f64_e32 v[66:67], v[195:196], v[66:67]
	v_mul_f64_e32 v[6:7], s[6:7], v[221:222]
	s_delay_alu instid0(VALU_DEP_4) | instskip(NEXT) | instid1(VALU_DEP_4)
	v_fma_f64 v[26:27], v[26:27], -0.5, v[195:196]
	v_add_f64_e32 v[20:21], v[20:21], v[62:63]
	s_delay_alu instid0(VALU_DEP_4) | instskip(NEXT) | instid1(VALU_DEP_4)
	v_add_f64_e32 v[66:67], v[66:67], v[70:71]
	v_fma_f64 v[6:7], v[223:224], -0.5, v[6:7]
	s_delay_alu instid0(VALU_DEP_1)
	v_add_f64_e32 v[14:15], v[2:3], v[6:7]
	v_add_f64_e64 v[2:3], v[2:3], -v[6:7]
	v_add_f64_e64 v[6:7], v[118:119], -v[42:43]
	ds_store_2addr_b64 v153, v[14:15], v[0:1] offset0:120 offset1:180
	v_add_f64_e64 v[0:1], v[192:193], -v[190:191]
	v_and_b32_e32 v14, 0xffff, v128
	v_lshlrev_b32_e32 v15, 3, v129
	v_fma_f64 v[225:226], v[6:7], s[6:7], v[26:27]
	v_lshl_add_u32 v192, v162, 3, 0
	v_add_nc_u32_e32 v193, 0x4400, v135
	v_mul_u32_u24_e32 v14, 0xb40, v14
	s_delay_alu instid0(VALU_DEP_1) | instskip(SKIP_3) | instid1(VALU_DEP_4)
	v_add3_u32 v129, 0, v14, v15
	v_add_f64_e32 v[14:15], v[112:113], v[62:63]
	v_add_f64_e64 v[62:63], v[112:113], -v[62:63]
	v_add_f64_e32 v[112:113], v[110:111], v[44:45]
	v_add_nc_u32_e32 v157, 0x400, v129
	ds_store_2addr_b64 v155, v[0:1], v[2:3] offset0:112 offset1:172
	v_add_f64_e32 v[2:3], v[118:119], v[42:43]
	v_add_f64_e32 v[0:1], v[114:115], v[118:119]
	v_fma_f64 v[118:119], v[6:7], s[2:3], v[26:27]
	v_add_f64_e32 v[26:27], v[40:41], v[68:69]
	v_fma_f64 v[14:15], v[14:15], -0.5, v[56:57]
	v_add_f64_e64 v[56:57], v[110:111], -v[44:45]
	v_add_f64_e32 v[110:111], v[199:200], v[110:111]
	v_fma_f64 v[112:113], v[112:113], -0.5, v[199:200]
	v_fma_f64 v[2:3], v[2:3], -0.5, v[114:115]
	v_add_f64_e32 v[0:1], v[0:1], v[42:43]
	v_mul_f64_e32 v[42:43], s[6:7], v[118:119]
	v_fma_f64 v[26:27], v[26:27], -0.5, v[72:73]
	v_mul_f64_e32 v[70:71], 0.5, v[118:119]
	v_fma_f64 v[6:7], v[56:57], s[2:3], v[14:15]
	v_fma_f64 v[58:59], v[56:57], s[6:7], v[14:15]
	v_add_f64_e32 v[44:45], v[110:111], v[44:45]
	v_fma_f64 v[110:111], v[62:63], s[2:3], v[112:113]
	v_fma_f64 v[62:63], v[62:63], s[6:7], v[112:113]
	v_mul_f64_e32 v[112:113], -0.5, v[225:226]
	v_fma_f64 v[127:128], v[28:29], s[6:7], v[2:3]
	v_fma_f64 v[227:228], v[28:29], s[2:3], v[2:3]
	v_mul_f64_e32 v[2:3], s[6:7], v[225:226]
	v_add_f64_e32 v[114:115], v[20:21], v[0:1]
	v_add_f64_e64 v[0:1], v[20:21], -v[0:1]
	v_add_f64_e64 v[28:29], v[40:41], -v[68:69]
	v_add_f64_e32 v[20:21], v[54:55], v[80:81]
	v_add_f64_e32 v[40:41], v[72:73], v[40:41]
	;; [unrolled: 1-line block ×3, first 2 shown]
	v_add_f64_e64 v[44:45], v[44:45], -v[66:67]
	v_fma_f64 v[42:43], v[127:128], 0.5, v[42:43]
	v_fma_f64 v[112:113], v[227:228], s[2:3], v[112:113]
	v_fma_f64 v[2:3], v[227:228], -0.5, v[2:3]
	v_fma_f64 v[70:71], v[127:128], s[2:3], v[70:71]
	v_add_f64_e32 v[20:21], v[20:21], v[92:93]
	v_add_f64_e32 v[40:41], v[40:41], v[68:69]
	;; [unrolled: 1-line block ×5, first 2 shown]
	v_add_f64_e64 v[2:3], v[6:7], -v[2:3]
	v_add_f64_e64 v[6:7], v[46:47], -v[36:37]
	;; [unrolled: 1-line block ×3, first 2 shown]
	ds_store_2addr_b64 v129, v[114:115], v[190:191] offset1:60
	v_lshl_add_u32 v190, v160, 3, 0
	ds_store_2addr_b64 v129, v[14:15], v[0:1] offset0:120 offset1:180
	v_add_f64_e64 v[0:1], v[58:59], -v[42:43]
	v_mul_u32_u24_e32 v14, 0xb40, v125
	v_lshlrev_b32_e32 v15, 3, v126
	v_fma_f64 v[231:232], v[6:7], s[6:7], v[26:27]
	v_fma_f64 v[124:125], v[6:7], s[2:3], v[26:27]
	v_add_nc_u32_e32 v191, 0x3c00, v135
	v_add_f64_e32 v[126:127], v[110:111], v[70:71]
	v_add3_u32 v159, 0, v14, v15
	v_add_f64_e32 v[14:15], v[80:81], v[92:93]
	s_delay_alu instid0(VALU_DEP_2)
	v_add_nc_u32_e32 v161, 0x400, v159
	ds_store_2addr_b64 v157, v[0:1], v[2:3] offset0:112 offset1:172
	v_add_f64_e32 v[2:3], v[46:47], v[36:37]
	v_add_f64_e32 v[0:1], v[38:39], v[46:47]
	v_mul_f64_e32 v[68:69], 0.5, v[124:125]
	v_fma_f64 v[14:15], v[14:15], -0.5, v[54:55]
	s_delay_alu instid0(VALU_DEP_4) | instskip(SKIP_3) | instid1(VALU_DEP_4)
	v_fma_f64 v[2:3], v[2:3], -0.5, v[38:39]
	v_add_f64_e64 v[38:39], v[78:79], -v[90:91]
	v_add_f64_e32 v[0:1], v[0:1], v[36:37]
	v_mul_f64_e32 v[36:37], s[6:7], v[124:125]
	v_fma_f64 v[229:230], v[28:29], s[6:7], v[2:3]
	v_fma_f64 v[233:234], v[28:29], s[2:3], v[2:3]
	v_mul_f64_e32 v[2:3], s[6:7], v[231:232]
	v_fma_f64 v[6:7], v[38:39], s[2:3], v[14:15]
	v_fma_f64 v[42:43], v[38:39], s[6:7], v[14:15]
	v_add_f64_e32 v[46:47], v[20:21], v[0:1]
	v_add_f64_e64 v[0:1], v[20:21], -v[0:1]
	v_add_f64_e64 v[20:21], v[102:103], -v[116:117]
	;; [unrolled: 1-line block ×3, first 2 shown]
	v_fma_f64 v[36:37], v[229:230], 0.5, v[36:37]
	v_fma_f64 v[68:69], v[229:230], s[2:3], v[68:69]
	v_fma_f64 v[2:3], v[233:234], -0.5, v[2:3]
	s_delay_alu instid0(VALU_DEP_3) | instskip(NEXT) | instid1(VALU_DEP_2)
	v_add_f64_e32 v[54:55], v[42:43], v[36:37]
	v_add_f64_e32 v[14:15], v[6:7], v[2:3]
	v_add_f64_e64 v[2:3], v[6:7], -v[2:3]
	v_add_f64_e64 v[6:7], v[16:17], -v[8:9]
	ds_store_2addr_b64 v159, v[46:47], v[54:55] offset1:60
	ds_store_2addr_b64 v159, v[14:15], v[0:1] offset0:120 offset1:180
	v_add_f64_e64 v[0:1], v[42:43], -v[36:37]
	v_add_f64_e32 v[14:15], v[52:53], v[76:77]
	ds_store_2addr_b64 v161, v[0:1], v[2:3] offset0:112 offset1:172
	v_add_f64_e32 v[0:1], v[32:33], v[16:17]
	v_add_f64_e32 v[2:3], v[16:17], v[8:9]
	v_add_f64_e32 v[16:17], v[102:103], v[116:117]
	v_add_f64_e32 v[14:15], v[14:15], v[98:99]
	s_delay_alu instid0(VALU_DEP_4) | instskip(SKIP_1) | instid1(VALU_DEP_4)
	v_add_f64_e32 v[0:1], v[0:1], v[8:9]
	v_mul_u32_u24_e32 v8, 0xb40, v48
	v_fma_f64 v[16:17], v[16:17], -0.5, v[64:65]
	v_lshlrev_b32_e32 v9, 3, v123
	v_fma_f64 v[2:3], v[2:3], -0.5, v[32:33]
	s_delay_alu instid0(VALU_DEP_2) | instskip(SKIP_1) | instid1(VALU_DEP_2)
	v_add3_u32 v48, 0, v8, v9
	v_add_f64_e32 v[8:9], v[76:77], v[98:99]
	v_add_nc_u32_e32 v163, 0x400, v48
	v_add_f64_e32 v[36:37], v[14:15], v[0:1]
	v_add_f64_e64 v[0:1], v[14:15], -v[0:1]
	v_fma_f64 v[237:238], v[6:7], s[6:7], v[16:17]
	v_fma_f64 v[122:123], v[6:7], s[2:3], v[16:17]
	;; [unrolled: 1-line block ×4, first 2 shown]
	v_add_f64_e32 v[14:15], v[94:95], v[108:109]
	v_add_f64_e64 v[16:17], v[94:95], -v[108:109]
	v_fma_f64 v[8:9], v[8:9], -0.5, v[52:53]
	v_mul_f64_e32 v[2:3], s[6:7], v[237:238]
	v_mul_f64_e32 v[26:27], s[6:7], v[122:123]
	v_fma_f64 v[14:15], v[14:15], -0.5, v[84:85]
	s_delay_alu instid0(VALU_DEP_4) | instskip(SKIP_3) | instid1(VALU_DEP_2)
	v_fma_f64 v[6:7], v[28:29], s[2:3], v[8:9]
	v_fma_f64 v[32:33], v[28:29], s[6:7], v[8:9]
	v_fma_f64 v[2:3], v[239:240], -0.5, v[2:3]
	v_fma_f64 v[26:27], v[235:236], 0.5, v[26:27]
	v_add_f64_e32 v[8:9], v[6:7], v[2:3]
	v_add_f64_e64 v[2:3], v[6:7], -v[2:3]
	v_add_f64_e64 v[6:7], v[12:13], -v[30:31]
	s_delay_alu instid0(VALU_DEP_4)
	v_add_f64_e32 v[38:39], v[32:33], v[26:27]
	ds_store_2addr_b64 v48, v[8:9], v[0:1] offset0:120 offset1:180
	v_add_f64_e64 v[0:1], v[32:33], -v[26:27]
	v_mul_u32_u24_e32 v8, 0xb40, v24
	v_lshlrev_b32_e32 v9, 3, v25
	v_fma_f64 v[243:244], v[6:7], s[6:7], v[14:15]
	ds_store_2addr_b64 v48, v[36:37], v[38:39] offset1:60
	v_add3_u32 v165, 0, v8, v9
	v_add_f64_e32 v[8:9], v[88:89], v[104:105]
	s_delay_alu instid0(VALU_DEP_2)
	v_add_nc_u32_e32 v203, 0x400, v165
	ds_store_2addr_b64 v163, v[0:1], v[2:3] offset0:112 offset1:172
	v_add_f64_e32 v[2:3], v[12:13], v[30:31]
	v_add_f64_e32 v[0:1], v[22:23], v[12:13]
	;; [unrolled: 1-line block ×3, first 2 shown]
	v_fma_f64 v[8:9], v[8:9], -0.5, v[50:51]
	v_fma_f64 v[50:51], v[6:7], s[2:3], v[14:15]
	v_fma_f64 v[2:3], v[2:3], -0.5, v[22:23]
	v_add_f64_e64 v[22:23], v[86:87], -v[100:101]
	v_add_f64_e32 v[0:1], v[0:1], v[30:31]
	v_add_f64_e32 v[12:13], v[12:13], v[104:105]
	v_mul_f64_e32 v[20:21], s[6:7], v[50:51]
	v_mul_f64_e32 v[50:51], 0.5, v[50:51]
	v_fma_f64 v[241:242], v[16:17], s[6:7], v[2:3]
	v_fma_f64 v[245:246], v[16:17], s[2:3], v[2:3]
	v_mul_f64_e32 v[2:3], s[6:7], v[243:244]
	v_fma_f64 v[6:7], v[22:23], s[2:3], v[8:9]
	v_fma_f64 v[24:25], v[22:23], s[6:7], v[8:9]
	v_add_f64_e32 v[26:27], v[12:13], v[0:1]
	v_add_f64_e64 v[0:1], v[12:13], -v[0:1]
	v_fma_f64 v[20:21], v[241:242], 0.5, v[20:21]
	v_fma_f64 v[50:51], v[241:242], s[2:3], v[50:51]
	v_fma_f64 v[2:3], v[245:246], -0.5, v[2:3]
	s_delay_alu instid0(VALU_DEP_3) | instskip(NEXT) | instid1(VALU_DEP_2)
	v_add_f64_e32 v[28:29], v[24:25], v[20:21]
	v_add_f64_e32 v[8:9], v[6:7], v[2:3]
	v_add_f64_e64 v[2:3], v[6:7], -v[2:3]
	ds_store_2addr_b64 v165, v[26:27], v[28:29] offset1:60
	ds_store_2addr_b64 v165, v[8:9], v[0:1] offset0:120 offset1:180
	v_add_f64_e64 v[0:1], v[24:25], -v[20:21]
	ds_store_2addr_b64 v203, v[0:1], v[2:3] offset0:112 offset1:172
	v_add_f64_e32 v[0:1], v[34:35], v[18:19]
	global_wb scope:SCOPE_SE
	s_wait_dscnt 0x0
	s_barrier_signal -1
	s_barrier_wait -1
	global_inv scope:SCOPE_SE
	v_add_f64_e32 v[251:252], v[0:1], v[10:11]
	v_mul_f64_e32 v[0:1], 0.5, v[186:187]
	v_lshl_add_u32 v186, v156, 3, 0
	v_lshl_add_u32 v187, v158, 3, 0
	s_delay_alu instid0(VALU_DEP_4) | instskip(NEXT) | instid1(VALU_DEP_4)
	v_add_f64_e32 v[214:215], v[249:250], v[251:252]
	v_fma_f64 v[253:254], v[188:189], s[2:3], v[0:1]
	v_lshl_add_u32 v188, v166, 3, 0
	v_lshl_add_u32 v189, v152, 3, 0
	ds_load_b64 v[106:107], v135
	ds_load_b64 v[56:57], v185
	;; [unrolled: 1-line block ×15, first 2 shown]
	ds_load_b64 v[114:115], v135 offset:22272
	ds_load_2addr_b64 v[24:27], v181 offset0:32 offset1:128
	ds_load_2addr_b64 v[20:23], v139 offset0:96 offset1:192
	ds_load_2addr_b64 v[16:19], v218 offset0:32 offset1:128
	ds_load_2addr_b64 v[12:15], v191 offset0:96 offset1:192
	ds_load_2addr_b64 v[8:11], v193 offset0:32 offset1:128
	ds_load_2addr_b64 v[4:7], v219 offset0:96 offset1:192
	ds_load_2addr_b64 v[0:3], v220 offset0:32 offset1:128
	global_wb scope:SCOPE_SE
	s_wait_dscnt 0x0
	s_barrier_signal -1
	s_barrier_wait -1
	global_inv scope:SCOPE_SE
	v_add_f64_e32 v[146:147], v[212:213], v[253:254]
	v_add_f64_e64 v[212:213], v[212:213], -v[253:254]
	ds_store_2addr_b64 v153, v[214:215], v[146:147] offset1:60
	v_fma_f64 v[146:147], v[247:248], s[6:7], v[197:198]
	v_mul_f64_e32 v[197:198], -0.5, v[221:222]
	v_add_f64_e64 v[214:215], v[249:250], -v[251:252]
	s_delay_alu instid0(VALU_DEP_2) | instskip(NEXT) | instid1(VALU_DEP_1)
	v_fma_f64 v[197:198], v[223:224], s[2:3], v[197:198]
	v_add_f64_e32 v[221:222], v[146:147], v[197:198]
	v_add_f64_e64 v[146:147], v[146:147], -v[197:198]
	ds_store_2addr_b64 v153, v[221:222], v[214:215] offset0:120 offset1:180
	ds_store_2addr_b64 v155, v[212:213], v[146:147] offset0:112 offset1:172
	;; [unrolled: 1-line block ×3, first 2 shown]
	v_add_f64_e64 v[44:45], v[110:111], -v[70:71]
	v_add_f64_e32 v[66:67], v[201:202], v[78:79]
	ds_store_2addr_b64 v129, v[118:119], v[126:127] offset1:60
	ds_store_2addr_b64 v157, v[44:45], v[62:63] offset0:112 offset1:172
	v_add_f64_e32 v[62:63], v[78:79], v[90:91]
	v_add_f64_e64 v[44:45], v[80:81], -v[92:93]
	v_add_f64_e32 v[66:67], v[66:67], v[90:91]
	s_delay_alu instid0(VALU_DEP_3) | instskip(NEXT) | instid1(VALU_DEP_2)
	v_fma_f64 v[62:63], v[62:63], -0.5, v[201:202]
	v_add_f64_e32 v[72:73], v[66:67], v[40:41]
	v_add_f64_e64 v[40:41], v[66:67], -v[40:41]
	s_delay_alu instid0(VALU_DEP_3) | instskip(SKIP_2) | instid1(VALU_DEP_3)
	v_fma_f64 v[70:71], v[44:45], s[2:3], v[62:63]
	v_fma_f64 v[44:45], v[44:45], s[6:7], v[62:63]
	v_mul_f64_e32 v[62:63], -0.5, v[231:232]
	v_add_f64_e32 v[78:79], v[70:71], v[68:69]
	s_delay_alu instid0(VALU_DEP_2)
	v_fma_f64 v[62:63], v[233:234], s[2:3], v[62:63]
	ds_store_2addr_b64 v159, v[72:73], v[78:79] offset1:60
	v_add_f64_e32 v[66:67], v[44:45], v[62:63]
	v_add_f64_e64 v[44:45], v[44:45], -v[62:63]
	v_add_f64_e32 v[62:63], v[74:75], v[96:97]
	ds_store_2addr_b64 v159, v[66:67], v[40:41] offset0:120 offset1:180
	v_add_f64_e64 v[40:41], v[70:71], -v[68:69]
	v_fma_f64 v[62:63], v[62:63], -0.5, v[130:131]
	v_mul_f64_e32 v[66:67], 0.5, v[122:123]
	ds_store_2addr_b64 v161, v[40:41], v[44:45] offset0:112 offset1:172
	v_add_f64_e64 v[40:41], v[76:77], -v[98:99]
	v_add_f64_e32 v[44:45], v[64:65], v[102:103]
	v_add_f64_e32 v[64:65], v[130:131], v[74:75]
	v_fma_f64 v[66:67], v[235:236], s[2:3], v[66:67]
	s_delay_alu instid0(VALU_DEP_4)
	v_fma_f64 v[68:69], v[40:41], s[2:3], v[62:63]
	v_fma_f64 v[40:41], v[40:41], s[6:7], v[62:63]
	v_mul_f64_e32 v[62:63], -0.5, v[237:238]
	v_add_f64_e32 v[64:65], v[64:65], v[96:97]
	v_add_f64_e32 v[44:45], v[44:45], v[116:117]
	;; [unrolled: 1-line block ×3, first 2 shown]
	s_delay_alu instid0(VALU_DEP_4) | instskip(NEXT) | instid1(VALU_DEP_3)
	v_fma_f64 v[62:63], v[239:240], s[2:3], v[62:63]
	v_add_f64_e32 v[70:71], v[64:65], v[44:45]
	v_add_f64_e64 v[44:45], v[64:65], -v[44:45]
	s_delay_alu instid0(VALU_DEP_3)
	v_add_f64_e32 v[64:65], v[40:41], v[62:63]
	v_add_f64_e64 v[40:41], v[40:41], -v[62:63]
	v_add_f64_e32 v[62:63], v[86:87], v[100:101]
	ds_store_2addr_b64 v48, v[70:71], v[72:73] offset1:60
	ds_store_2addr_b64 v48, v[64:65], v[44:45] offset0:120 offset1:180
	v_add_f64_e64 v[44:45], v[68:69], -v[66:67]
	v_fma_f64 v[62:63], v[62:63], -0.5, v[120:121]
	v_add_f64_e32 v[64:65], v[120:121], v[86:87]
	ds_store_2addr_b64 v163, v[44:45], v[40:41] offset0:112 offset1:172
	v_add_f64_e64 v[40:41], v[88:89], -v[104:105]
	v_add_f64_e32 v[44:45], v[84:85], v[94:95]
	v_add_f64_e32 v[64:65], v[64:65], v[100:101]
	s_delay_alu instid0(VALU_DEP_3) | instskip(SKIP_3) | instid1(VALU_DEP_4)
	v_fma_f64 v[66:67], v[40:41], s[2:3], v[62:63]
	v_fma_f64 v[40:41], v[40:41], s[6:7], v[62:63]
	v_mul_f64_e32 v[62:63], -0.5, v[243:244]
	v_add_f64_e32 v[44:45], v[44:45], v[108:109]
	v_add_f64_e32 v[70:71], v[66:67], v[50:51]
	s_delay_alu instid0(VALU_DEP_3) | instskip(NEXT) | instid1(VALU_DEP_3)
	v_fma_f64 v[62:63], v[245:246], s[2:3], v[62:63]
	v_add_f64_e32 v[68:69], v[64:65], v[44:45]
	v_add_f64_e64 v[44:45], v[64:65], -v[44:45]
	s_delay_alu instid0(VALU_DEP_3)
	v_add_f64_e32 v[64:65], v[40:41], v[62:63]
	v_add_f64_e64 v[40:41], v[40:41], -v[62:63]
	ds_store_2addr_b64 v165, v[68:69], v[70:71] offset1:60
	ds_store_2addr_b64 v165, v[64:65], v[44:45] offset0:120 offset1:180
	v_add_f64_e64 v[44:45], v[66:67], -v[50:51]
	ds_store_2addr_b64 v203, v[44:45], v[40:41] offset0:112 offset1:172
	v_lshlrev_b64_e32 v[40:41], 4, v[144:145]
	global_wb scope:SCOPE_SE
	s_wait_dscnt 0x0
	s_barrier_signal -1
	s_barrier_wait -1
	global_inv scope:SCOPE_SE
	ds_load_2addr_b64 v[66:69], v181 offset0:32 offset1:128
	v_add_co_u32 v50, s0, s4, v40
	s_wait_alu 0xf1ff
	v_add_co_ci_u32_e64 v51, s0, s5, v41, s0
	s_clause 0x1
	global_load_b128 v[62:65], v[50:51], off offset:5600
	global_load_b128 v[70:73], v[50:51], off offset:5984
	s_wait_loadcnt_dscnt 0x100
	v_mul_f64_e32 v[40:41], v[66:67], v[64:65]
	s_delay_alu instid0(VALU_DEP_1) | instskip(SKIP_2) | instid1(VALU_DEP_1)
	v_fma_f64 v[84:85], v[24:25], v[62:63], v[40:41]
	v_mul_f64_e32 v[24:25], v[24:25], v[64:65]
	v_lshlrev_b64_e32 v[40:41], 4, v[179:180]
	v_add_co_u32 v44, s0, s4, v40
	s_wait_alu 0xf1ff
	s_delay_alu instid0(VALU_DEP_2) | instskip(SKIP_1) | instid1(VALU_DEP_1)
	v_add_co_ci_u32_e64 v45, s0, s5, v41, s0
	v_lshlrev_b64_e32 v[40:41], 4, v[177:178]
	v_add_co_u32 v40, s0, s4, v40
	s_wait_alu 0xf1ff
	s_delay_alu instid0(VALU_DEP_2)
	v_add_co_ci_u32_e64 v41, s0, s5, v41, s0
	v_cmp_gt_u32_e64 s0, 0x48, v144
	v_fma_f64 v[24:25], v[66:67], v[62:63], -v[24:25]
	s_clause 0x1
	global_load_b128 v[62:65], v[44:45], off offset:5600
	global_load_b128 v[74:77], v[40:41], off offset:5600
	s_wait_loadcnt 0x1
	v_mul_f64_e32 v[66:67], v[68:69], v[64:65]
	s_delay_alu instid0(VALU_DEP_1)
	v_fma_f64 v[86:87], v[26:27], v[62:63], v[66:67]
	v_mul_f64_e32 v[26:27], v[26:27], v[64:65]
	ds_load_2addr_b64 v[64:67], v139 offset0:96 offset1:192
	v_fma_f64 v[62:63], v[68:69], v[62:63], -v[26:27]
	s_wait_loadcnt_dscnt 0x0
	v_mul_f64_e32 v[26:27], v[64:65], v[76:77]
	v_and_b32_e32 v68, 0xffff, v156
	s_delay_alu instid0(VALU_DEP_1) | instskip(NEXT) | instid1(VALU_DEP_1)
	v_mul_u32_u24_e32 v68, 0x2d83, v68
	v_lshrrev_b32_e32 v153, 22, v68
	s_delay_alu instid0(VALU_DEP_1) | instskip(NEXT) | instid1(VALU_DEP_1)
	v_mul_lo_u16 v68, 0x168, v153
	v_sub_nc_u16 v68, v156, v68
	s_delay_alu instid0(VALU_DEP_1) | instskip(NEXT) | instid1(VALU_DEP_1)
	v_and_b32_e32 v155, 0xffff, v68
	v_lshlrev_b32_e32 v68, 4, v155
	v_fma_f64 v[26:27], v[20:21], v[74:75], v[26:27]
	v_mul_f64_e32 v[20:21], v[20:21], v[76:77]
	s_delay_alu instid0(VALU_DEP_1) | instskip(SKIP_2) | instid1(VALU_DEP_1)
	v_fma_f64 v[64:65], v[64:65], v[74:75], -v[20:21]
	v_add_nc_u32_e32 v20, 0xffffffb8, v144
	s_wait_alu 0xf1ff
	v_cndmask_b32_e64 v48, v20, v175, s0
	s_delay_alu instid0(VALU_DEP_1) | instskip(NEXT) | instid1(VALU_DEP_1)
	v_lshlrev_b64_e32 v[20:21], 4, v[48:49]
	v_add_co_u32 v20, s0, s4, v20
	s_wait_alu 0xf1ff
	s_delay_alu instid0(VALU_DEP_2)
	v_add_co_ci_u32_e64 v21, s0, s5, v21, s0
	s_clause 0x1
	global_load_b128 v[74:77], v[20:21], off offset:5600
	global_load_b128 v[78:81], v68, s[4:5] offset:5600
	v_cmp_lt_u32_e64 s0, 0x47, v144
	s_wait_loadcnt 0x1
	v_mul_f64_e32 v[20:21], v[66:67], v[76:77]
	s_delay_alu instid0(VALU_DEP_1) | instskip(SKIP_1) | instid1(VALU_DEP_1)
	v_fma_f64 v[88:89], v[22:23], v[74:75], v[20:21]
	v_mul_f64_e32 v[20:21], v[22:23], v[76:77]
	v_fma_f64 v[90:91], v[66:67], v[74:75], -v[20:21]
	ds_load_2addr_b64 v[20:23], v218 offset0:32 offset1:128
	s_wait_dscnt 0x0
	v_mul_f64_e32 v[66:67], v[20:21], v[72:73]
	s_delay_alu instid0(VALU_DEP_1) | instskip(SKIP_1) | instid1(VALU_DEP_1)
	v_fma_f64 v[74:75], v[16:17], v[70:71], v[66:67]
	v_mul_f64_e32 v[16:17], v[16:17], v[72:73]
	v_fma_f64 v[92:93], v[20:21], v[70:71], -v[16:17]
	s_clause 0x1
	global_load_b128 v[66:69], v[50:51], off offset:7520
	global_load_b128 v[70:73], v[50:51], off offset:9056
	s_wait_loadcnt 0x1
	v_mul_f64_e32 v[16:17], v[22:23], v[68:69]
	s_delay_alu instid0(VALU_DEP_1) | instskip(SKIP_1) | instid1(VALU_DEP_1)
	v_fma_f64 v[76:77], v[18:19], v[66:67], v[16:17]
	v_mul_f64_e32 v[16:17], v[18:19], v[68:69]
	v_fma_f64 v[94:95], v[22:23], v[66:67], -v[16:17]
	ds_load_2addr_b64 v[16:19], v191 offset0:96 offset1:192
	s_wait_loadcnt_dscnt 0x0
	v_mul_f64_e32 v[20:21], v[16:17], v[72:73]
	s_delay_alu instid0(VALU_DEP_1) | instskip(SKIP_1) | instid1(VALU_DEP_1)
	v_fma_f64 v[66:67], v[12:13], v[70:71], v[20:21]
	v_mul_f64_e32 v[12:13], v[12:13], v[72:73]
	v_fma_f64 v[96:97], v[16:17], v[70:71], -v[12:13]
	v_mul_f64_e32 v[12:13], v[18:19], v[80:81]
	s_delay_alu instid0(VALU_DEP_1) | instskip(SKIP_1) | instid1(VALU_DEP_1)
	v_fma_f64 v[68:69], v[14:15], v[78:79], v[12:13]
	v_mul_f64_e32 v[12:13], v[14:15], v[80:81]
	v_fma_f64 v[98:99], v[18:19], v[78:79], -v[12:13]
	v_and_b32_e32 v12, 0xffff, v158
	v_and_b32_e32 v13, 0xffff, v166
	s_delay_alu instid0(VALU_DEP_2) | instskip(NEXT) | instid1(VALU_DEP_2)
	v_mul_u32_u24_e32 v12, 0x2d83, v12
	v_mul_u32_u24_e32 v13, 0x2d83, v13
	s_delay_alu instid0(VALU_DEP_2) | instskip(NEXT) | instid1(VALU_DEP_2)
	v_lshrrev_b32_e32 v12, 22, v12
	v_lshrrev_b32_e32 v13, 22, v13
	s_delay_alu instid0(VALU_DEP_2) | instskip(NEXT) | instid1(VALU_DEP_2)
	v_mul_lo_u16 v12, 0x168, v12
	v_mul_lo_u16 v13, 0x168, v13
	s_delay_alu instid0(VALU_DEP_2) | instskip(NEXT) | instid1(VALU_DEP_2)
	v_sub_nc_u16 v12, v158, v12
	v_sub_nc_u16 v13, v166, v13
	s_delay_alu instid0(VALU_DEP_2) | instskip(NEXT) | instid1(VALU_DEP_2)
	v_and_b32_e32 v72, 0xffff, v12
	v_and_b32_e32 v73, 0xffff, v13
	s_delay_alu instid0(VALU_DEP_2) | instskip(NEXT) | instid1(VALU_DEP_2)
	v_lshlrev_b32_e32 v12, 4, v72
	v_lshlrev_b32_e32 v16, 4, v73
	s_clause 0x1
	global_load_b128 v[12:15], v12, s[4:5] offset:5600
	global_load_b128 v[16:19], v16, s[4:5] offset:5600
	ds_load_2addr_b64 v[20:23], v193 offset0:32 offset1:128
	s_wait_loadcnt_dscnt 0x100
	v_mul_f64_e32 v[70:71], v[20:21], v[14:15]
	s_delay_alu instid0(VALU_DEP_1) | instskip(SKIP_1) | instid1(VALU_DEP_1)
	v_fma_f64 v[70:71], v[8:9], v[12:13], v[70:71]
	v_mul_f64_e32 v[8:9], v[8:9], v[14:15]
	v_fma_f64 v[100:101], v[20:21], v[12:13], -v[8:9]
	s_wait_loadcnt 0x0
	v_mul_f64_e32 v[8:9], v[22:23], v[18:19]
	s_delay_alu instid0(VALU_DEP_1) | instskip(SKIP_1) | instid1(VALU_DEP_1)
	v_fma_f64 v[20:21], v[10:11], v[16:17], v[8:9]
	v_mul_f64_e32 v[8:9], v[10:11], v[18:19]
	v_fma_f64 v[102:103], v[22:23], v[16:17], -v[8:9]
	v_and_b32_e32 v8, 0xffff, v154
	v_and_b32_e32 v9, 0xffff, v152
	s_delay_alu instid0(VALU_DEP_2) | instskip(NEXT) | instid1(VALU_DEP_2)
	v_mul_u32_u24_e32 v8, 0x2d83, v8
	v_mul_u32_u24_e32 v9, 0x2d83, v9
	s_delay_alu instid0(VALU_DEP_2) | instskip(NEXT) | instid1(VALU_DEP_2)
	v_lshrrev_b32_e32 v8, 22, v8
	v_lshrrev_b32_e32 v78, 22, v9
	s_delay_alu instid0(VALU_DEP_2) | instskip(NEXT) | instid1(VALU_DEP_2)
	v_mul_lo_u16 v8, 0x168, v8
	v_mul_lo_u16 v9, 0x168, v78
	s_delay_alu instid0(VALU_DEP_2) | instskip(NEXT) | instid1(VALU_DEP_2)
	v_sub_nc_u16 v8, v154, v8
	v_sub_nc_u16 v9, v152, v9
	s_delay_alu instid0(VALU_DEP_2) | instskip(NEXT) | instid1(VALU_DEP_2)
	v_and_b32_e32 v79, 0xffff, v8
	v_and_b32_e32 v80, 0xffff, v9
	s_delay_alu instid0(VALU_DEP_2) | instskip(NEXT) | instid1(VALU_DEP_2)
	v_lshlrev_b32_e32 v8, 4, v79
	v_lshlrev_b32_e32 v12, 4, v80
	s_clause 0x1
	global_load_b128 v[8:11], v8, s[4:5] offset:5600
	global_load_b128 v[12:15], v12, s[4:5] offset:5600
	ds_load_2addr_b64 v[16:19], v219 offset0:96 offset1:192
	s_wait_loadcnt_dscnt 0x100
	v_mul_f64_e32 v[22:23], v[16:17], v[10:11]
	s_delay_alu instid0(VALU_DEP_1) | instskip(SKIP_1) | instid1(VALU_DEP_1)
	v_fma_f64 v[22:23], v[4:5], v[8:9], v[22:23]
	v_mul_f64_e32 v[4:5], v[4:5], v[10:11]
	v_fma_f64 v[104:105], v[16:17], v[8:9], -v[4:5]
	s_wait_loadcnt 0x0
	v_mul_f64_e32 v[4:5], v[18:19], v[14:15]
	s_delay_alu instid0(VALU_DEP_1) | instskip(SKIP_1) | instid1(VALU_DEP_1)
	v_fma_f64 v[16:17], v[6:7], v[12:13], v[4:5]
	v_mul_f64_e32 v[4:5], v[6:7], v[14:15]
	v_fma_f64 v[108:109], v[18:19], v[12:13], -v[4:5]
	v_and_b32_e32 v4, 0xffff, v160
	v_and_b32_e32 v5, 0xffff, v162
	s_delay_alu instid0(VALU_DEP_2) | instskip(NEXT) | instid1(VALU_DEP_2)
	v_mul_u32_u24_e32 v4, 0x2d83, v4
	v_mul_u32_u24_e32 v5, 0x2d83, v5
	s_delay_alu instid0(VALU_DEP_2) | instskip(NEXT) | instid1(VALU_DEP_2)
	v_lshrrev_b32_e32 v4, 22, v4
	v_lshrrev_b32_e32 v5, 22, v5
	s_delay_alu instid0(VALU_DEP_2) | instskip(NEXT) | instid1(VALU_DEP_2)
	v_mul_lo_u16 v4, 0x168, v4
	v_mul_lo_u16 v5, 0x168, v5
	s_delay_alu instid0(VALU_DEP_2) | instskip(NEXT) | instid1(VALU_DEP_2)
	v_sub_nc_u16 v4, v160, v4
	v_sub_nc_u16 v5, v162, v5
	s_delay_alu instid0(VALU_DEP_2) | instskip(NEXT) | instid1(VALU_DEP_2)
	v_and_b32_e32 v81, 0xffff, v4
	v_and_b32_e32 v157, 0xffff, v5
	s_delay_alu instid0(VALU_DEP_2) | instskip(NEXT) | instid1(VALU_DEP_2)
	v_lshlrev_b32_e32 v4, 4, v81
	v_lshlrev_b32_e32 v8, 4, v157
	s_clause 0x1
	global_load_b128 v[4:7], v4, s[4:5] offset:5600
	global_load_b128 v[8:11], v8, s[4:5] offset:5600
	ds_load_2addr_b64 v[12:15], v220 offset0:32 offset1:128
	v_lshl_add_u32 v157, v157, 3, 0
	s_wait_loadcnt_dscnt 0x100
	v_mul_f64_e32 v[18:19], v[12:13], v[6:7]
	s_delay_alu instid0(VALU_DEP_1) | instskip(SKIP_1) | instid1(VALU_DEP_1)
	v_fma_f64 v[18:19], v[0:1], v[4:5], v[18:19]
	v_mul_f64_e32 v[0:1], v[0:1], v[6:7]
	v_fma_f64 v[110:111], v[12:13], v[4:5], -v[0:1]
	s_wait_loadcnt 0x0
	v_mul_f64_e32 v[0:1], v[14:15], v[10:11]
	s_delay_alu instid0(VALU_DEP_1) | instskip(SKIP_1) | instid1(VALU_DEP_1)
	v_fma_f64 v[4:5], v[2:3], v[8:9], v[0:1]
	v_mul_f64_e32 v[0:1], v[2:3], v[10:11]
	v_fma_f64 v[112:113], v[14:15], v[8:9], -v[0:1]
	v_and_b32_e32 v0, 0xffff, v164
	ds_load_b64 v[116:117], v133
	ds_load_b64 v[6:7], v135 offset:22272
	ds_load_b64 v[8:9], v135
	v_mul_u32_u24_e32 v0, 0x2d83, v0
	s_delay_alu instid0(VALU_DEP_1) | instskip(NEXT) | instid1(VALU_DEP_1)
	v_lshrrev_b32_e32 v0, 22, v0
	v_mul_lo_u16 v0, 0x168, v0
	s_delay_alu instid0(VALU_DEP_1) | instskip(NEXT) | instid1(VALU_DEP_1)
	v_sub_nc_u16 v0, v164, v0
	v_and_b32_e32 v14, 0xffff, v0
	s_delay_alu instid0(VALU_DEP_1)
	v_lshlrev_b32_e32 v0, 4, v14
	v_lshl_add_u32 v159, v14, 3, 0
	global_load_b128 v[0:3], v0, s[4:5] offset:5600
	s_wait_loadcnt_dscnt 0x1
	v_mul_f64_e32 v[10:11], v[6:7], v[2:3]
	v_mul_f64_e32 v[2:3], v[114:115], v[2:3]
	s_delay_alu instid0(VALU_DEP_2) | instskip(NEXT) | instid1(VALU_DEP_2)
	v_fma_f64 v[10:11], v[114:115], v[0:1], v[10:11]
	v_fma_f64 v[114:115], v[6:7], v[0:1], -v[2:3]
	v_add_f64_e64 v[0:1], v[106:107], -v[84:85]
	s_delay_alu instid0(VALU_DEP_1)
	v_fma_f64 v[2:3], v[106:107], 2.0, -v[0:1]
	ds_load_b64 v[84:85], v137
	ds_load_b64 v[106:107], v149
	;; [unrolled: 1-line block ×13, first 2 shown]
	global_wb scope:SCOPE_SE
	s_wait_dscnt 0x0
	s_barrier_signal -1
	s_barrier_wait -1
	global_inv scope:SCOPE_SE
	ds_store_b64 v135, v[0:1] offset:2880
	ds_store_b64 v135, v[2:3]
	v_add_f64_e64 v[0:1], v[82:83], -v[86:87]
	v_lshl_add_u32 v87, v72, 3, 0
	s_delay_alu instid0(VALU_DEP_2) | instskip(SKIP_3) | instid1(VALU_DEP_1)
	v_fma_f64 v[2:3], v[82:83], 2.0, -v[0:1]
	ds_store_b64 v149, v[2:3]
	ds_store_b64 v149, v[0:1] offset:2880
	v_add_f64_e64 v[0:1], v[60:61], -v[26:27]
	v_fma_f64 v[2:3], v[60:61], 2.0, -v[0:1]
	ds_store_b64 v151, v[2:3]
	ds_store_b64 v151, v[0:1] offset:2880
	s_wait_alu 0xf1ff
	v_cndmask_b32_e64 v0, 0, 0x1680, s0
	v_lshlrev_b32_e32 v1, 3, v48
	s_delay_alu instid0(VALU_DEP_1) | instskip(SKIP_3) | instid1(VALU_DEP_3)
	v_add3_u32 v48, 0, v0, v1
	v_add_f64_e64 v[0:1], v[56:57], -v[88:89]
	v_lshl_add_u32 v88, v73, 3, 0
	v_lshl_add_u32 v89, v79, 3, 0
	v_fma_f64 v[2:3], v[56:57], 2.0, -v[0:1]
	ds_store_b64 v48, v[2:3]
	ds_store_b64 v48, v[0:1] offset:2880
	v_add_f64_e64 v[0:1], v[54:55], -v[74:75]
	v_add_f64_e64 v[2:3], v[58:59], -v[76:77]
	v_lshl_add_u32 v56, v144, 3, 0
	s_delay_alu instid0(VALU_DEP_1)
	v_add_nc_u32_e32 v61, 0x1400, v56
	v_add_nc_u32_e32 v82, 0x1c00, v56
	;; [unrolled: 1-line block ×3, first 2 shown]
	v_fma_f64 v[6:7], v[54:55], 2.0, -v[0:1]
	v_fma_f64 v[12:13], v[58:59], 2.0, -v[2:3]
	ds_store_2addr_b64 v61, v[6:7], v[12:13] offset0:104 offset1:200
	v_add_f64_e64 v[6:7], v[52:53], -v[66:67]
	s_delay_alu instid0(VALU_DEP_1)
	v_fma_f64 v[12:13], v[52:53], 2.0, -v[6:7]
	ds_store_2addr_b64 v83, v[2:3], v[6:7] offset0:48 offset1:144
	ds_store_2addr_b64 v82, v[12:13], v[0:1] offset0:40 offset1:208
	v_mul_u32_u24_e32 v0, 0x1680, v153
	v_lshlrev_b32_e32 v1, 3, v155
	v_lshl_add_u32 v155, v81, 3, 0
	s_delay_alu instid0(VALU_DEP_2) | instskip(SKIP_1) | instid1(VALU_DEP_1)
	v_add3_u32 v86, 0, v0, v1
	v_add_f64_e64 v[0:1], v[46:47], -v[68:69]
	v_fma_f64 v[2:3], v[46:47], 2.0, -v[0:1]
	ds_store_b64 v86, v[2:3]
	ds_store_b64 v86, v[0:1] offset:2880
	v_add_f64_e64 v[0:1], v[42:43], -v[70:71]
	s_delay_alu instid0(VALU_DEP_1) | instskip(SKIP_2) | instid1(VALU_DEP_1)
	v_fma_f64 v[2:3], v[42:43], 2.0, -v[0:1]
	ds_store_b64 v87, v[2:3] offset:11520
	v_add_f64_e64 v[2:3], v[36:37], -v[20:21]
	v_fma_f64 v[6:7], v[36:37], 2.0, -v[2:3]
	ds_store_b64 v87, v[0:1] offset:14400
	ds_store_b64 v88, v[6:7] offset:11520
	ds_store_b64 v88, v[2:3] offset:14400
	v_add_f64_e64 v[0:1], v[38:39], -v[22:23]
	s_delay_alu instid0(VALU_DEP_1) | instskip(SKIP_4) | instid1(VALU_DEP_1)
	v_fma_f64 v[2:3], v[38:39], 2.0, -v[0:1]
	ds_store_b64 v89, v[2:3] offset:11520
	ds_store_b64 v89, v[0:1] offset:14400
	v_mul_u32_u24_e32 v0, 0x1680, v78
	v_lshlrev_b32_e32 v1, 3, v80
	v_add3_u32 v153, 0, v0, v1
	v_add_f64_e64 v[0:1], v[34:35], -v[16:17]
	s_delay_alu instid0(VALU_DEP_1) | instskip(SKIP_3) | instid1(VALU_DEP_1)
	v_fma_f64 v[2:3], v[34:35], 2.0, -v[0:1]
	ds_store_b64 v153, v[2:3]
	ds_store_b64 v153, v[0:1] offset:2880
	v_add_f64_e64 v[0:1], v[32:33], -v[18:19]
	v_fma_f64 v[2:3], v[32:33], 2.0, -v[0:1]
	ds_store_b64 v155, v[2:3] offset:17280
	v_add_f64_e64 v[2:3], v[30:31], -v[4:5]
	s_delay_alu instid0(VALU_DEP_1) | instskip(SKIP_4) | instid1(VALU_DEP_1)
	v_fma_f64 v[4:5], v[30:31], 2.0, -v[2:3]
	ds_store_b64 v155, v[0:1] offset:20160
	ds_store_b64 v157, v[4:5] offset:17280
	;; [unrolled: 1-line block ×3, first 2 shown]
	v_add_f64_e64 v[0:1], v[28:29], -v[10:11]
	v_fma_f64 v[2:3], v[28:29], 2.0, -v[0:1]
	v_add_f64_e64 v[28:29], v[8:9], -v[24:25]
	ds_store_b64 v159, v[2:3] offset:17280
	ds_store_b64 v159, v[0:1] offset:20160
	v_fma_f64 v[32:33], v[8:9], 2.0, -v[28:29]
	global_wb scope:SCOPE_SE
	s_wait_dscnt 0x0
	s_barrier_signal -1
	s_barrier_wait -1
	global_inv scope:SCOPE_SE
	ds_load_b64 v[46:47], v135
	ds_load_b64 v[30:31], v185
	;; [unrolled: 1-line block ×15, first 2 shown]
	ds_load_b64 v[54:55], v135 offset:22272
	ds_load_2addr_b64 v[57:60], v181 offset0:32 offset1:128
	ds_load_2addr_b64 v[66:69], v139 offset0:96 offset1:192
	;; [unrolled: 1-line block ×7, first 2 shown]
	global_wb scope:SCOPE_SE
	s_wait_dscnt 0x0
	s_barrier_signal -1
	s_barrier_wait -1
	global_inv scope:SCOPE_SE
	ds_store_b64 v135, v[32:33]
	ds_store_b64 v135, v[28:29] offset:2880
	v_add_f64_e64 v[28:29], v[106:107], -v[62:63]
	s_delay_alu instid0(VALU_DEP_1) | instskip(SKIP_3) | instid1(VALU_DEP_1)
	v_fma_f64 v[32:33], v[106:107], 2.0, -v[28:29]
	ds_store_b64 v149, v[32:33]
	ds_store_b64 v149, v[28:29] offset:2880
	v_add_f64_e64 v[28:29], v[118:119], -v[64:65]
	v_fma_f64 v[32:33], v[118:119], 2.0, -v[28:29]
	ds_store_b64 v151, v[32:33]
	ds_store_b64 v151, v[28:29] offset:2880
	v_add_f64_e64 v[28:29], v[120:121], -v[90:91]
	s_delay_alu instid0(VALU_DEP_1)
	v_fma_f64 v[32:33], v[120:121], 2.0, -v[28:29]
	ds_store_b64 v48, v[32:33]
	ds_store_b64 v48, v[28:29] offset:2880
	v_add_f64_e64 v[28:29], v[122:123], -v[92:93]
	v_add_f64_e64 v[32:33], v[116:117], -v[94:95]
	v_subrev_nc_u32_e32 v48, 48, v144
	s_delay_alu instid0(VALU_DEP_3) | instskip(NEXT) | instid1(VALU_DEP_3)
	v_fma_f64 v[36:37], v[122:123], 2.0, -v[28:29]
	v_fma_f64 v[52:53], v[116:117], 2.0, -v[32:33]
	ds_store_2addr_b64 v61, v[36:37], v[52:53] offset0:104 offset1:200
	v_add_f64_e64 v[36:37], v[124:125], -v[96:97]
	s_delay_alu instid0(VALU_DEP_1) | instskip(SKIP_4) | instid1(VALU_DEP_2)
	v_fma_f64 v[52:53], v[124:125], 2.0, -v[36:37]
	ds_store_2addr_b64 v82, v[52:53], v[28:29] offset0:40 offset1:208
	ds_store_2addr_b64 v83, v[32:33], v[36:37] offset0:48 offset1:144
	v_add_f64_e64 v[28:29], v[126:127], -v[98:99]
	v_lshlrev_b64_e32 v[52:53], 4, v[167:168]
	v_fma_f64 v[32:33], v[126:127], 2.0, -v[28:29]
	ds_store_b64 v86, v[32:33]
	ds_store_b64 v86, v[28:29] offset:2880
	v_add_f64_e64 v[28:29], v[128:129], -v[100:101]
	s_delay_alu instid0(VALU_DEP_1) | instskip(SKIP_2) | instid1(VALU_DEP_1)
	v_fma_f64 v[32:33], v[128:129], 2.0, -v[28:29]
	ds_store_b64 v87, v[32:33] offset:11520
	v_add_f64_e64 v[32:33], v[130:131], -v[102:103]
	v_fma_f64 v[36:37], v[130:131], 2.0, -v[32:33]
	ds_store_b64 v87, v[28:29] offset:14400
	ds_store_b64 v88, v[36:37] offset:11520
	;; [unrolled: 1-line block ×3, first 2 shown]
	v_add_f64_e64 v[28:29], v[84:85], -v[104:105]
	s_delay_alu instid0(VALU_DEP_1) | instskip(SKIP_3) | instid1(VALU_DEP_1)
	v_fma_f64 v[32:33], v[84:85], 2.0, -v[28:29]
	ds_store_b64 v89, v[32:33] offset:11520
	ds_store_b64 v89, v[28:29] offset:14400
	v_add_f64_e64 v[28:29], v[146:147], -v[108:109]
	v_fma_f64 v[32:33], v[146:147], 2.0, -v[28:29]
	ds_store_b64 v153, v[32:33]
	ds_store_b64 v153, v[28:29] offset:2880
	v_add_f64_e64 v[28:29], v[177:178], -v[110:111]
	s_delay_alu instid0(VALU_DEP_1) | instskip(SKIP_2) | instid1(VALU_DEP_1)
	v_fma_f64 v[32:33], v[177:178], 2.0, -v[28:29]
	ds_store_b64 v155, v[32:33] offset:17280
	v_add_f64_e64 v[32:33], v[179:180], -v[112:113]
	v_fma_f64 v[36:37], v[179:180], 2.0, -v[32:33]
	ds_store_b64 v155, v[28:29] offset:20160
	ds_store_b64 v157, v[36:37] offset:17280
	ds_store_b64 v157, v[32:33] offset:20160
	v_add_f64_e64 v[28:29], v[195:196], -v[114:115]
	s_delay_alu instid0(VALU_DEP_1)
	v_fma_f64 v[32:33], v[195:196], 2.0, -v[28:29]
	ds_store_b64 v159, v[32:33] offset:17280
	ds_store_b64 v159, v[28:29] offset:20160
	global_wb scope:SCOPE_SE
	s_wait_dscnt 0x0
	s_barrier_signal -1
	s_barrier_wait -1
	global_inv scope:SCOPE_SE
	s_clause 0x1
	global_load_b128 v[61:64], v[50:51], off offset:11360
	global_load_b128 v[86:89], v[50:51], off offset:12128
	ds_load_2addr_b64 v[82:85], v181 offset0:32 offset1:128
	s_wait_loadcnt_dscnt 0x100
	v_mul_f64_e32 v[28:29], v[82:83], v[63:64]
	s_delay_alu instid0(VALU_DEP_1) | instskip(SKIP_1) | instid1(VALU_DEP_1)
	v_fma_f64 v[94:95], v[57:58], v[61:62], v[28:29]
	v_mul_f64_e32 v[28:29], v[57:58], v[63:64]
	v_fma_f64 v[96:97], v[82:83], v[61:62], -v[28:29]
	s_clause 0x1
	global_load_b128 v[61:64], v[44:45], off offset:11360
	global_load_b128 v[90:93], v[40:41], off offset:11360
	s_wait_loadcnt 0x1
	v_mul_f64_e32 v[28:29], v[84:85], v[63:64]
	s_delay_alu instid0(VALU_DEP_1)
	v_fma_f64 v[98:99], v[59:60], v[61:62], v[28:29]
	v_mul_f64_e32 v[28:29], v[59:60], v[63:64]
	ds_load_2addr_b64 v[57:60], v139 offset0:96 offset1:192
	v_fma_f64 v[100:101], v[84:85], v[61:62], -v[28:29]
	s_wait_loadcnt_dscnt 0x0
	v_mul_f64_e32 v[28:29], v[57:58], v[92:93]
	s_delay_alu instid0(VALU_DEP_1) | instskip(SKIP_1) | instid1(VALU_DEP_1)
	v_fma_f64 v[102:103], v[66:67], v[90:91], v[28:29]
	v_mul_f64_e32 v[28:29], v[66:67], v[92:93]
	v_fma_f64 v[90:91], v[57:58], v[90:91], -v[28:29]
	v_lshlrev_b64_e32 v[28:29], 4, v[173:174]
	s_delay_alu instid0(VALU_DEP_1) | instskip(SKIP_1) | instid1(VALU_DEP_2)
	v_add_co_u32 v36, s0, s4, v28
	s_wait_alu 0xf1ff
	v_add_co_ci_u32_e64 v37, s0, s5, v29, s0
	v_lshlrev_b64_e32 v[28:29], 4, v[171:172]
	s_delay_alu instid0(VALU_DEP_1) | instskip(SKIP_1) | instid1(VALU_DEP_2)
	v_add_co_u32 v32, s0, s4, v28
	s_wait_alu 0xf1ff
	v_add_co_ci_u32_e64 v33, s0, s5, v29, s0
	s_clause 0x1
	global_load_b128 v[61:64], v[36:37], off offset:11360
	global_load_b128 v[82:85], v[32:33], off offset:11360
	s_wait_loadcnt 0x1
	v_mul_f64_e32 v[28:29], v[59:60], v[63:64]
	s_delay_alu instid0(VALU_DEP_1) | instskip(SKIP_1) | instid1(VALU_DEP_1)
	v_fma_f64 v[92:93], v[68:69], v[61:62], v[28:29]
	v_mul_f64_e32 v[28:29], v[68:69], v[63:64]
	v_fma_f64 v[104:105], v[59:60], v[61:62], -v[28:29]
	ds_load_2addr_b64 v[57:60], v218 offset0:32 offset1:128
	s_wait_loadcnt_dscnt 0x0
	v_mul_f64_e32 v[28:29], v[57:58], v[84:85]
	s_delay_alu instid0(VALU_DEP_1) | instskip(SKIP_1) | instid1(VALU_DEP_1)
	v_fma_f64 v[106:107], v[70:71], v[82:83], v[28:29]
	v_mul_f64_e32 v[28:29], v[70:71], v[84:85]
	v_fma_f64 v[69:70], v[57:58], v[82:83], -v[28:29]
	v_lshlrev_b64_e32 v[28:29], 4, v[169:170]
	s_delay_alu instid0(VALU_DEP_1) | instskip(SKIP_1) | instid1(VALU_DEP_2)
	v_add_co_u32 v28, s0, s4, v28
	s_wait_alu 0xf1ff
	v_add_co_ci_u32_e64 v29, s0, s5, v29, s0
	v_add_co_u32 v52, s0, s4, v52
	s_wait_alu 0xf1ff
	v_add_co_ci_u32_e64 v53, s0, s5, v53, s0
	s_clause 0x1
	global_load_b128 v[61:64], v[28:29], off offset:11360
	global_load_b128 v[65:68], v[52:53], off offset:11360
	v_cmp_gt_u32_e64 s0, 48, v144
	s_wait_alu 0xf1ff
	s_delay_alu instid0(VALU_DEP_1) | instskip(SKIP_2) | instid1(VALU_DEP_1)
	v_cndmask_b32_e64 v48, v48, v156, s0
	s_wait_loadcnt 0x1
	v_mul_f64_e32 v[57:58], v[59:60], v[63:64]
	v_fma_f64 v[82:83], v[72:73], v[61:62], v[57:58]
	v_mul_f64_e32 v[57:58], v[72:73], v[63:64]
	s_delay_alu instid0(VALU_DEP_1) | instskip(SKIP_3) | instid1(VALU_DEP_1)
	v_fma_f64 v[71:72], v[59:60], v[61:62], -v[57:58]
	ds_load_2addr_b64 v[57:60], v191 offset0:96 offset1:192
	s_wait_loadcnt_dscnt 0x0
	v_mul_f64_e32 v[61:62], v[57:58], v[67:68]
	v_fma_f64 v[84:85], v[74:75], v[65:66], v[61:62]
	v_mul_f64_e32 v[61:62], v[74:75], v[67:68]
	s_delay_alu instid0(VALU_DEP_1) | instskip(SKIP_1) | instid1(VALU_DEP_1)
	v_fma_f64 v[73:74], v[57:58], v[65:66], -v[61:62]
	v_lshlrev_b64_e32 v[57:58], 4, v[48:49]
	v_add_co_u32 v57, s0, s4, v57
	s_wait_alu 0xf1ff
	s_delay_alu instid0(VALU_DEP_2) | instskip(SKIP_4) | instid1(VALU_DEP_1)
	v_add_co_ci_u32_e64 v58, s0, s5, v58, s0
	v_cmp_lt_u32_e64 s0, 47, v144
	global_load_b128 v[61:64], v[57:58], off offset:11360
	s_wait_loadcnt 0x0
	v_mul_f64_e32 v[57:58], v[59:60], v[63:64]
	v_fma_f64 v[108:109], v[76:77], v[61:62], v[57:58]
	v_mul_f64_e32 v[57:58], v[76:77], v[63:64]
	s_delay_alu instid0(VALU_DEP_1) | instskip(SKIP_3) | instid1(VALU_DEP_1)
	v_fma_f64 v[75:76], v[59:60], v[61:62], -v[57:58]
	ds_load_2addr_b64 v[57:60], v193 offset0:32 offset1:128
	s_wait_dscnt 0x0
	v_mul_f64_e32 v[61:62], v[57:58], v[88:89]
	v_fma_f64 v[110:111], v[78:79], v[86:87], v[61:62]
	v_mul_f64_e32 v[61:62], v[78:79], v[88:89]
	s_delay_alu instid0(VALU_DEP_1)
	v_fma_f64 v[77:78], v[57:58], v[86:87], -v[61:62]
	s_clause 0x1
	global_load_b128 v[61:64], v[50:51], off offset:13664
	global_load_b128 v[65:68], v[50:51], off offset:15200
	s_wait_loadcnt 0x1
	v_mul_f64_e32 v[57:58], v[59:60], v[63:64]
	s_delay_alu instid0(VALU_DEP_1) | instskip(SKIP_2) | instid1(VALU_DEP_2)
	v_fma_f64 v[86:87], v[80:81], v[61:62], v[57:58]
	v_mul_f64_e32 v[57:58], v[80:81], v[63:64]
	v_add_nc_u32_e32 v81, 0x4c00, v56
	v_fma_f64 v[79:80], v[59:60], v[61:62], -v[57:58]
	ds_load_2addr_b64 v[57:60], v219 offset0:96 offset1:192
	s_wait_loadcnt_dscnt 0x0
	v_mul_f64_e32 v[61:62], v[57:58], v[67:68]
	s_delay_alu instid0(VALU_DEP_1) | instskip(SKIP_1) | instid1(VALU_DEP_1)
	v_fma_f64 v[88:89], v[4:5], v[65:66], v[61:62]
	v_mul_f64_e32 v[4:5], v[4:5], v[67:68]
	v_fma_f64 v[146:147], v[57:58], v[65:66], -v[4:5]
	s_clause 0x1
	global_load_b128 v[61:64], v[50:51], off offset:16736
	global_load_b128 v[65:68], v[50:51], off offset:18272
	s_wait_loadcnt 0x1
	v_mul_f64_e32 v[4:5], v[59:60], v[63:64]
	s_delay_alu instid0(VALU_DEP_1) | instskip(SKIP_1) | instid1(VALU_DEP_1)
	v_fma_f64 v[112:113], v[6:7], v[61:62], v[4:5]
	v_mul_f64_e32 v[4:5], v[6:7], v[63:64]
	v_fma_f64 v[177:178], v[59:60], v[61:62], -v[4:5]
	ds_load_2addr_b64 v[4:7], v220 offset0:32 offset1:128
	s_wait_loadcnt_dscnt 0x0
	v_mul_f64_e32 v[57:58], v[4:5], v[67:68]
	s_delay_alu instid0(VALU_DEP_1) | instskip(SKIP_4) | instid1(VALU_DEP_1)
	v_fma_f64 v[114:115], v[0:1], v[65:66], v[57:58]
	s_clause 0x1
	global_load_b128 v[57:60], v[50:51], off offset:19808
	global_load_b128 v[61:64], v[50:51], off offset:21344
	v_mul_f64_e32 v[0:1], v[0:1], v[67:68]
	v_fma_f64 v[65:66], v[4:5], v[65:66], -v[0:1]
	s_wait_loadcnt 0x1
	v_mul_f64_e32 v[0:1], v[6:7], v[59:60]
	s_delay_alu instid0(VALU_DEP_1) | instskip(SKIP_1) | instid1(VALU_DEP_2)
	v_fma_f64 v[0:1], v[2:3], v[57:58], v[0:1]
	v_mul_f64_e32 v[2:3], v[2:3], v[59:60]
	v_add_f64_e64 v[0:1], v[12:13], -v[0:1]
	s_delay_alu instid0(VALU_DEP_2)
	v_fma_f64 v[57:58], v[6:7], v[57:58], -v[2:3]
	ds_load_b64 v[2:3], v135 offset:22272
	ds_load_b64 v[59:60], v133
	ds_load_b64 v[4:5], v135
	s_wait_loadcnt_dscnt 0x2
	v_mul_f64_e32 v[6:7], v[2:3], v[63:64]
	v_fma_f64 v[12:13], v[12:13], 2.0, -v[0:1]
	s_delay_alu instid0(VALU_DEP_2) | instskip(SKIP_1) | instid1(VALU_DEP_2)
	v_fma_f64 v[6:7], v[54:55], v[61:62], v[6:7]
	v_mul_f64_e32 v[54:55], v[54:55], v[63:64]
	v_add_f64_e64 v[6:7], v[8:9], -v[6:7]
	s_delay_alu instid0(VALU_DEP_2)
	v_fma_f64 v[54:55], v[2:3], v[61:62], -v[54:55]
	v_add_f64_e64 v[2:3], v[46:47], -v[94:95]
	ds_load_b64 v[61:62], v137
	ds_load_b64 v[63:64], v149
	;; [unrolled: 1-line block ×13, first 2 shown]
	global_wb scope:SCOPE_SE
	s_wait_dscnt 0x0
	s_barrier_signal -1
	s_barrier_wait -1
	global_inv scope:SCOPE_SE
	v_fma_f64 v[8:9], v[8:9], 2.0, -v[6:7]
	v_fma_f64 v[46:47], v[46:47], 2.0, -v[2:3]
	ds_store_b64 v135, v[2:3] offset:5760
	ds_store_b64 v135, v[46:47]
	v_add_f64_e64 v[2:3], v[42:43], -v[98:99]
	v_add_nc_u32_e32 v46, 0x2c00, v56
	v_add_nc_u32_e32 v47, 0x4800, v56
	s_delay_alu instid0(VALU_DEP_3) | instskip(SKIP_3) | instid1(VALU_DEP_1)
	v_fma_f64 v[42:43], v[42:43], 2.0, -v[2:3]
	ds_store_b64 v149, v[42:43]
	ds_store_b64 v149, v[2:3] offset:5760
	v_add_f64_e64 v[2:3], v[38:39], -v[102:103]
	v_fma_f64 v[38:39], v[38:39], 2.0, -v[2:3]
	ds_store_b64 v151, v[38:39]
	ds_store_b64 v151, v[2:3] offset:5760
	v_add_f64_e64 v[2:3], v[30:31], -v[92:93]
	s_delay_alu instid0(VALU_DEP_1) | instskip(SKIP_4) | instid1(VALU_DEP_2)
	v_fma_f64 v[30:31], v[30:31], 2.0, -v[2:3]
	ds_store_b64 v185, v[30:31]
	ds_store_b64 v185, v[2:3] offset:5760
	v_add_f64_e64 v[2:3], v[26:27], -v[106:107]
	v_add_f64_e64 v[30:31], v[4:5], -v[96:97]
	v_fma_f64 v[26:27], v[26:27], 2.0, -v[2:3]
	ds_store_b64 v217, v[26:27]
	ds_store_b64 v217, v[2:3] offset:5760
	v_add_f64_e64 v[2:3], v[34:35], -v[82:83]
	v_add_nc_u32_e32 v82, 0x3800, v56
	v_add_nc_u32_e32 v83, 0x4000, v56
	s_delay_alu instid0(VALU_DEP_3) | instskip(SKIP_4) | instid1(VALU_DEP_2)
	v_fma_f64 v[26:27], v[34:35], 2.0, -v[2:3]
	ds_store_b64 v133, v[26:27]
	ds_store_b64 v133, v[2:3] offset:5760
	v_add_f64_e64 v[2:3], v[24:25], -v[84:85]
	v_fma_f64 v[34:35], v[4:5], 2.0, -v[30:31]
	v_fma_f64 v[24:25], v[24:25], 2.0, -v[2:3]
	ds_store_b64 v183, v[24:25]
	ds_store_b64 v183, v[2:3] offset:5760
	s_wait_alu 0xf1ff
	v_cndmask_b32_e64 v2, 0, 0x2d00, s0
	v_lshlrev_b32_e32 v3, 3, v48
	v_add_nc_u32_e32 v48, 0x3000, v56
	v_add_nc_u32_e32 v56, 0x5000, v56
	s_delay_alu instid0(VALU_DEP_3) | instskip(SKIP_1) | instid1(VALU_DEP_1)
	v_add3_u32 v38, 0, v2, v3
	v_add_f64_e64 v[2:3], v[16:17], -v[108:109]
	v_fma_f64 v[16:17], v[16:17], 2.0, -v[2:3]
	ds_store_b64 v38, v[16:17]
	ds_store_b64 v38, v[2:3] offset:5760
	v_add_f64_e64 v[2:3], v[18:19], -v[110:111]
	v_add_f64_e64 v[16:17], v[20:21], -v[86:87]
	ds_store_2addr_b64 v56, v[0:1], v[6:7] offset0:128 offset1:224
	v_fma_f64 v[18:19], v[18:19], 2.0, -v[2:3]
	v_fma_f64 v[20:21], v[20:21], 2.0, -v[16:17]
	ds_store_2addr_b64 v83, v[8:9], v[2:3] offset0:16 offset1:160
	ds_store_2addr_b64 v46, v[18:19], v[20:21] offset0:80 offset1:176
	v_add_f64_e64 v[18:19], v[22:23], -v[88:89]
	ds_store_2addr_b64 v47, v[16:17], v[18:19] offset1:96
	v_fma_f64 v[16:17], v[22:23], 2.0, -v[18:19]
	v_add_f64_e64 v[18:19], v[14:15], -v[112:113]
	s_delay_alu instid0(VALU_DEP_1) | instskip(SKIP_2) | instid1(VALU_DEP_1)
	v_fma_f64 v[14:15], v[14:15], 2.0, -v[18:19]
	ds_store_2addr_b64 v48, v[16:17], v[14:15] offset0:144 offset1:240
	v_add_f64_e64 v[14:15], v[10:11], -v[114:115]
	v_fma_f64 v[10:11], v[10:11], 2.0, -v[14:15]
	ds_store_2addr_b64 v81, v[18:19], v[14:15] offset0:64 offset1:160
	ds_store_2addr_b64 v82, v[10:11], v[12:13] offset0:80 offset1:176
	global_wb scope:SCOPE_SE
	s_wait_dscnt 0x0
	s_barrier_signal -1
	s_barrier_wait -1
	global_inv scope:SCOPE_SE
	ds_load_b64 v[114:115], v135
	ds_load_b64 v[128:129], v185
	;; [unrolled: 1-line block ×15, first 2 shown]
	ds_load_b64 v[174:175], v135 offset:22272
	ds_load_2addr_b64 v[16:19], v181 offset0:32 offset1:128
	ds_load_2addr_b64 v[20:23], v139 offset0:96 offset1:192
	;; [unrolled: 1-line block ×7, first 2 shown]
	global_wb scope:SCOPE_SE
	s_wait_dscnt 0x0
	s_barrier_signal -1
	s_barrier_wait -1
	global_inv scope:SCOPE_SE
	ds_store_b64 v135, v[34:35]
	ds_store_b64 v135, v[30:31] offset:5760
	v_add_f64_e64 v[30:31], v[63:64], -v[100:101]
	s_delay_alu instid0(VALU_DEP_1) | instskip(SKIP_3) | instid1(VALU_DEP_1)
	v_fma_f64 v[34:35], v[63:64], 2.0, -v[30:31]
	ds_store_b64 v149, v[34:35]
	ds_store_b64 v149, v[30:31] offset:5760
	v_add_f64_e64 v[30:31], v[67:68], -v[90:91]
	v_fma_f64 v[34:35], v[67:68], 2.0, -v[30:31]
	ds_store_b64 v151, v[34:35]
	ds_store_b64 v151, v[30:31] offset:5760
	v_add_f64_e64 v[30:31], v[94:95], -v[104:105]
	s_delay_alu instid0(VALU_DEP_1) | instskip(SKIP_3) | instid1(VALU_DEP_1)
	v_fma_f64 v[34:35], v[94:95], 2.0, -v[30:31]
	ds_store_b64 v185, v[34:35]
	ds_store_b64 v185, v[30:31] offset:5760
	v_add_f64_e64 v[30:31], v[179:180], -v[69:70]
	v_fma_f64 v[34:35], v[179:180], 2.0, -v[30:31]
	;; [unrolled: 9-line block ×3, first 2 shown]
	ds_store_b64 v183, v[34:35]
	ds_store_b64 v183, v[30:31] offset:5760
	v_add_f64_e64 v[30:31], v[197:198], -v[75:76]
	s_delay_alu instid0(VALU_DEP_1) | instskip(SKIP_4) | instid1(VALU_DEP_2)
	v_fma_f64 v[34:35], v[197:198], 2.0, -v[30:31]
	ds_store_b64 v38, v[34:35]
	ds_store_b64 v38, v[30:31] offset:5760
	v_add_f64_e64 v[30:31], v[199:200], -v[77:78]
	v_add_f64_e64 v[34:35], v[201:202], -v[79:80]
	v_fma_f64 v[38:39], v[199:200], 2.0, -v[30:31]
	s_delay_alu instid0(VALU_DEP_2)
	v_fma_f64 v[42:43], v[201:202], 2.0, -v[34:35]
	ds_store_2addr_b64 v46, v[38:39], v[42:43] offset0:80 offset1:176
	v_add_f64_e64 v[38:39], v[61:62], -v[146:147]
	ds_store_2addr_b64 v47, v[34:35], v[38:39] offset1:96
	v_fma_f64 v[34:35], v[61:62], 2.0, -v[38:39]
	v_add_f64_e64 v[38:39], v[212:213], -v[177:178]
	s_delay_alu instid0(VALU_DEP_1)
	v_fma_f64 v[42:43], v[212:213], 2.0, -v[38:39]
	ds_store_2addr_b64 v48, v[34:35], v[42:43] offset0:144 offset1:240
	v_add_f64_e64 v[34:35], v[214:215], -v[65:66]
	ds_store_2addr_b64 v81, v[38:39], v[34:35] offset0:64 offset1:160
	v_add_f64_e64 v[38:39], v[221:222], -v[57:58]
	v_fma_f64 v[34:35], v[214:215], 2.0, -v[34:35]
	s_delay_alu instid0(VALU_DEP_2) | instskip(SKIP_2) | instid1(VALU_DEP_1)
	v_fma_f64 v[42:43], v[221:222], 2.0, -v[38:39]
	ds_store_2addr_b64 v82, v[34:35], v[42:43] offset0:80 offset1:176
	v_add_f64_e64 v[34:35], v[223:224], -v[54:55]
	v_fma_f64 v[42:43], v[223:224], 2.0, -v[34:35]
	ds_store_2addr_b64 v83, v[42:43], v[30:31] offset0:16 offset1:160
	ds_store_2addr_b64 v56, v[38:39], v[34:35] offset0:128 offset1:224
	global_wb scope:SCOPE_SE
	s_wait_dscnt 0x0
	s_barrier_signal -1
	s_barrier_wait -1
	global_inv scope:SCOPE_SE
	s_and_saveexec_b32 s0, vcc_lo
	s_cbranch_execz .LBB0_15
; %bb.14:
	v_mov_b32_e32 v167, v49
	v_dual_mov_b32 v165, v49 :: v_dual_add_nc_u32 v240, 0x660, v144
	v_mov_b32_e32 v159, v49
	v_mov_b32_e32 v163, v49
	s_delay_alu instid0(VALU_DEP_4)
	v_lshlrev_b64_e32 v[54:55], 4, v[166:167]
	v_mov_b32_e32 v153, v49
	v_mad_co_u64_u32 v[177:178], null, s8, v216, 0
	v_mov_b32_e32 v161, v49
	v_mad_co_u64_u32 v[197:198], null, s8, v134, 0
	;; [unrolled: 2-line block ×3, first 2 shown]
	v_mov_b32_e32 v157, v49
	v_lshlrev_b64_e32 v[48:49], 4, v[164:165]
	s_clause 0x3
	global_load_b128 v[28:31], v[28:29], off offset:22880
	global_load_b128 v[32:35], v[32:33], off offset:22880
	;; [unrolled: 1-line block ×4, first 2 shown]
	v_add_co_u32 v50, vcc_lo, s4, v54
	v_lshlrev_b64_e32 v[60:61], 4, v[158:159]
	s_wait_alu 0xfffd
	v_add_co_ci_u32_e32 v51, vcc_lo, s5, v55, vcc_lo
	v_lshlrev_b64_e32 v[62:63], 4, v[156:157]
	v_add_co_u32 v48, vcc_lo, s4, v48
	s_wait_alu 0xfffd
	v_add_co_ci_u32_e32 v49, vcc_lo, s5, v49, vcc_lo
	v_lshlrev_b64_e32 v[58:59], 4, v[154:155]
	global_load_b128 v[80:83], v[50:51], off offset:22880
	v_add_co_u32 v50, vcc_lo, s4, v60
	v_lshlrev_b64_e32 v[56:57], 4, v[162:163]
	s_wait_alu 0xfffd
	v_add_co_ci_u32_e32 v51, vcc_lo, s5, v61, vcc_lo
	v_mul_i32_i24_e32 v162, 0xffffffb8, v148
	v_add_co_u32 v60, vcc_lo, s4, v62
	s_wait_alu 0xfffd
	v_add_co_ci_u32_e32 v61, vcc_lo, s5, v63, vcc_lo
	v_add_co_u32 v58, vcc_lo, s4, v58
	v_add_nc_u32_e32 v244, v143, v162
	v_mov_b32_e32 v162, v178
	v_lshlrev_b64_e32 v[54:55], 4, v[160:161]
	s_wait_alu 0xfffd
	v_add_co_ci_u32_e32 v59, vcc_lo, s5, v59, vcc_lo
	s_clause 0x2
	global_load_b128 v[40:43], v[40:41], off offset:22880
	global_load_b128 v[44:47], v[44:45], off offset:22880
	;; [unrolled: 1-line block ×3, first 2 shown]
	v_lshlrev_b64_e32 v[62:63], 4, v[152:153]
	s_clause 0x3
	global_load_b128 v[76:79], v[60:61], off offset:22880
	global_load_b128 v[48:51], v[48:49], off offset:22880
	;; [unrolled: 1-line block ×4, first 2 shown]
	v_add_co_u32 v52, vcc_lo, s4, v56
	s_wait_alu 0xfffd
	v_add_co_ci_u32_e32 v53, vcc_lo, s5, v57, vcc_lo
	v_add_co_u32 v54, vcc_lo, s4, v54
	s_wait_alu 0xfffd
	v_add_co_ci_u32_e32 v55, vcc_lo, s5, v55, vcc_lo
	;; [unrolled: 3-line block ×3, first 2 shown]
	s_clause 0x2
	global_load_b128 v[60:63], v[52:53], off offset:22880
	global_load_b128 v[56:59], v[54:55], off offset:22880
	;; [unrolled: 1-line block ×3, first 2 shown]
	v_mul_i32_i24_e32 v147, 0xffffffb8, v150
	ds_load_b64 v[150:151], v194
	ds_load_b64 v[148:149], v192
	ds_load_2addr_b64 v[92:95], v220 offset0:32 offset1:128
	ds_load_2addr_b64 v[88:91], v219 offset0:96 offset1:192
	;; [unrolled: 1-line block ×3, first 2 shown]
	ds_load_b64 v[154:155], v190
	ds_load_b64 v[152:153], v189
	;; [unrolled: 1-line block ×4, first 2 shown]
	ds_load_2addr_b64 v[100:103], v191 offset0:96 offset1:192
	ds_load_2addr_b64 v[104:107], v218 offset0:32 offset1:128
	v_mul_lo_u32 v203, s8, v145
	s_clause 0x2
	scratch_load_b64 v[145:146], off, off th:TH_LOAD_LU
	scratch_load_b32 v238, off, off offset:12 th:TH_LOAD_LU
	scratch_load_b32 v234, off, off offset:16 th:TH_LOAD_LU
	v_mad_co_u64_u32 v[166:167], null, s8, v142, 0
	v_mad_co_u64_u32 v[164:165], null, s8, v184, 0
	;; [unrolled: 1-line block ×3, first 2 shown]
	v_mul_lo_u32 v163, s9, v144
	v_mad_co_u64_u32 v[160:161], null, s8, v144, 0
	v_mad_co_u64_u32 v[179:180], null, s8, v136, 0
	;; [unrolled: 1-line block ×4, first 2 shown]
	v_add_nc_u32_e32 v245, v141, v147
	v_mov_b32_e32 v147, v167
	v_mad_co_u64_u32 v[187:188], null, s8, v140, 0
	v_mad_co_u64_u32 v[191:192], null, s8, v138, 0
	s_wait_dscnt 0x9
	s_delay_alu instid0(VALU_DEP_3)
	v_mad_co_u64_u32 v[226:227], null, s9, v142, v[147:148]
	v_mov_b32_e32 v142, v194
	v_or_b32_e32 v242, 0x780, v144
	v_mad_co_u64_u32 v[212:213], null, s8, v255, 0
	v_mad_co_u64_u32 v[214:215], null, s8, v211, 0
	v_add_nc_u32_e32 v243, 0x8a0, v144
	v_add_nc_u32_e32 v247, 0x9c0, v144
	v_mad_co_u64_u32 v[143:144], null, s8, v240, 0
	v_add3_u32 v161, v161, v203, v163
	v_mov_b32_e32 v163, v180
	v_mad_co_u64_u32 v[195:196], null, s8, v132, 0
	v_mov_b32_e32 v178, v192
	v_mad_co_u64_u32 v[189:190], null, s8, v176, 0
	v_lshrrev_b32_e32 v224, 5, v207
	s_delay_alu instid0(VALU_DEP_1) | instskip(SKIP_1) | instid1(VALU_DEP_4)
	v_mul_hi_u32 v239, 0x5b05b06, v224
	v_mad_co_u64_u32 v[224:225], null, s8, v242, 0
	v_mov_b32_e32 v167, v190
	s_wait_loadcnt 0x2
	v_add_co_u32 v145, vcc_lo, s10, v145
	s_wait_loadcnt 0x1
	v_mad_co_u64_u32 v[220:221], null, s8, v238, 0
	v_mov_b32_e32 v141, v165
	s_wait_loadcnt 0x0
	v_mad_co_u64_u32 v[199:200], null, s8, v234, 0
	s_wait_alu 0xfffd
	v_add_co_ci_u32_e32 v146, vcc_lo, s11, v146, vcc_lo
	v_mad_co_u64_u32 v[227:228], null, s9, v184, v[141:142]
	v_mad_co_u64_u32 v[228:229], null, s9, v216, v[162:163]
	v_mov_b32_e32 v165, v188
	v_mov_b32_e32 v141, v196
	s_delay_alu instid0(VALU_DEP_2)
	v_mad_co_u64_u32 v[229:230], null, s9, v140, v[165:166]
	v_mad_co_u64_u32 v[230:231], null, s9, v138, v[178:179]
	;; [unrolled: 1-line block ×3, first 2 shown]
	v_mov_b32_e32 v142, v213
	v_mov_b32_e32 v140, v200
	;; [unrolled: 1-line block ×3, first 2 shown]
	v_mad_co_u64_u32 v[202:203], null, s9, v176, v[167:168]
	s_delay_alu instid0(VALU_DEP_4) | instskip(SKIP_3) | instid1(VALU_DEP_3)
	v_mad_co_u64_u32 v[232:233], null, s9, v132, v[141:142]
	v_mov_b32_e32 v132, v215
	v_mad_co_u64_u32 v[233:234], null, s9, v234, v[140:141]
	v_mad_co_u64_u32 v[234:235], null, s9, v210, v[138:139]
	;; [unrolled: 1-line block ×3, first 2 shown]
	v_mov_b32_e32 v132, v223
	v_mad_u32_u24 v203, 0x5a0, v239, v207
	v_dual_mov_b32 v165, v227 :: v_dual_mov_b32 v188, v229
	v_mov_b32_e32 v178, v228
	s_delay_alu instid0(VALU_DEP_4)
	v_mad_co_u64_u32 v[207:208], null, s9, v208, v[132:133]
	v_mov_b32_e32 v132, v144
	v_mad_co_u64_u32 v[162:163], null, s9, v136, v[163:164]
	v_mov_b32_e32 v136, v198
	v_mad_co_u64_u32 v[228:229], null, s8, v247, 0
	v_dual_mov_b32 v167, v226 :: v_dual_mov_b32 v190, v202
	s_delay_alu instid0(VALU_DEP_3)
	v_mad_co_u64_u32 v[215:216], null, s9, v134, v[136:137]
	v_mov_b32_e32 v134, v219
	v_mov_b32_e32 v136, v221
	;; [unrolled: 1-line block ×4, first 2 shown]
	v_mad_co_u64_u32 v[235:236], null, s9, v255, v[142:143]
	v_mad_co_u64_u32 v[236:237], null, s9, v209, v[134:135]
	;; [unrolled: 1-line block ×3, first 2 shown]
	v_lshlrev_b64_e32 v[140:141], 4, v[160:161]
	ds_load_b64 v[238:239], v186
	ds_load_b64 v[182:183], v183
	;; [unrolled: 1-line block ×4, first 2 shown]
	ds_load_2addr_b64 v[160:163], v181 offset0:32 offset1:128
	v_dual_mov_b32 v196, v232 :: v_dual_mov_b32 v219, v236
	v_dual_mov_b32 v200, v233 :: v_dual_mov_b32 v223, v207
	v_mad_co_u64_u32 v[232:233], null, s8, v203, 0
	v_dual_mov_b32 v142, v229 :: v_dual_add_nc_u32 v229, 0x5a0, v203
	v_lshlrev_b64_e32 v[176:177], 4, v[177:178]
	v_lshlrev_b64_e32 v[178:179], 4, v[179:180]
	;; [unrolled: 1-line block ×4, first 2 shown]
	v_mov_b32_e32 v147, v233
	v_lshlrev_b64_e32 v[188:189], 4, v[191:192]
	v_mul_f64_e32 v[190:191], v[26:27], v[30:31]
	s_wait_dscnt 0x5
	v_mul_f64_e32 v[30:31], v[106:107], v[30:31]
	v_add_co_u32 v208, vcc_lo, v145, v140
	s_wait_alu 0xfffd
	v_add_co_ci_u32_e32 v209, vcc_lo, v146, v141, vcc_lo
	ds_load_2addr_b64 v[138:141], v139 offset0:96 offset1:192
	v_mad_co_u64_u32 v[226:227], null, s8, v243, 0
	v_mov_b32_e32 v134, v225
	v_mad_co_u64_u32 v[240:241], null, s9, v240, v[132:133]
	v_mov_b32_e32 v213, v235
	v_mad_co_u64_u32 v[235:236], null, s9, v203, v[147:148]
	s_delay_alu instid0(VALU_DEP_4)
	v_mad_co_u64_u32 v[241:242], null, s9, v242, v[134:135]
	v_mov_b32_e32 v202, v234
	v_mul_f64_e32 v[233:234], v[24:25], v[34:35]
	v_mul_f64_e32 v[34:35], v[104:105], v[34:35]
	v_mov_b32_e32 v132, v227
	v_dual_mov_b32 v198, v215 :: v_dual_mov_b32 v221, v237
	v_mul_f64_e32 v[236:237], v[22:23], v[38:39]
	v_dual_mov_b32 v194, v231 :: v_dual_mov_b32 v215, v210
	s_wait_dscnt 0x0
	v_mul_f64_e32 v[38:39], v[140:141], v[38:39]
	v_mad_co_u64_u32 v[242:243], null, s9, v243, v[132:133]
	ds_load_b64 v[136:137], v137
	ds_load_b64 v[132:133], v133
	ds_load_b64 v[230:231], v135 offset:22272
	ds_load_b64 v[134:135], v135
	ds_load_b64 v[243:244], v244
	;; [unrolled: 1-line block ×3, first 2 shown]
	v_mad_co_u64_u32 v[210:211], null, s8, v229, 0
	v_lshlrev_b64_e32 v[164:165], 4, v[164:165]
	v_lshlrev_b64_e32 v[166:167], 4, v[166:167]
	;; [unrolled: 1-line block ×5, first 2 shown]
	v_fma_f64 v[106:107], v[28:29], v[106:107], -v[190:191]
	v_fma_f64 v[26:27], v[26:27], v[28:29], v[30:31]
	v_mul_f64_e32 v[28:29], v[20:21], v[42:43]
	v_mul_f64_e32 v[42:43], v[138:139], v[42:43]
	;; [unrolled: 1-line block ×3, first 2 shown]
	v_mov_b32_e32 v30, v211
	v_add_co_u32 v164, vcc_lo, v145, v164
	s_wait_alu 0xfffd
	v_add_co_ci_u32_e32 v165, vcc_lo, v146, v165, vcc_lo
	v_add_co_u32 v166, vcc_lo, v145, v166
	s_wait_alu 0xfffd
	v_add_co_ci_u32_e32 v167, vcc_lo, v146, v167, vcc_lo
	;; [unrolled: 3-line block ×3, first 2 shown]
	v_fma_f64 v[104:105], v[32:33], v[104:105], -v[233:234]
	v_mov_b32_e32 v233, v235
	v_fma_f64 v[24:25], v[24:25], v[32:33], v[34:35]
	v_mul_f64_e32 v[31:32], v[162:163], v[46:47]
	v_mul_f64_e32 v[33:34], v[16:17], v[70:71]
	;; [unrolled: 1-line block ×4, first 2 shown]
	v_fma_f64 v[140:141], v[36:37], v[140:141], -v[236:237]
	v_fma_f64 v[35:36], v[22:23], v[36:37], v[38:39]
	v_mul_f64_e32 v[22:23], v[98:99], v[82:83]
	v_mul_f64_e32 v[37:38], v[12:13], v[74:75]
	;; [unrolled: 1-line block ×5, first 2 shown]
	v_add_co_u32 v178, vcc_lo, v145, v178
	s_wait_alu 0xfffd
	v_add_co_ci_u32_e32 v179, vcc_lo, v146, v179, vcc_lo
	v_add_co_u32 v180, vcc_lo, v145, v180
	s_wait_alu 0xfffd
	v_add_co_ci_u32_e32 v181, vcc_lo, v146, v181, vcc_lo
	v_fma_f64 v[28:29], v[40:41], v[138:139], -v[28:29]
	v_fma_f64 v[20:21], v[20:21], v[40:41], v[42:43]
	v_mul_f64_e32 v[39:40], v[8:9], v[86:87]
	v_mul_f64_e32 v[41:42], v[100:101], v[86:87]
	;; [unrolled: 1-line block ×3, first 2 shown]
	v_fma_f64 v[138:139], v[44:45], v[162:163], -v[190:191]
	v_add_co_u32 v186, vcc_lo, v145, v186
	s_wait_alu 0xfffd
	v_add_co_ci_u32_e32 v187, vcc_lo, v146, v187, vcc_lo
	v_add_co_u32 v188, vcc_lo, v145, v188
	s_wait_alu 0xfffd
	v_add_co_ci_u32_e32 v189, vcc_lo, v146, v189, vcc_lo
	;; [unrolled: 3-line block ×3, first 2 shown]
	v_lshlrev_b64_e32 v[198:199], 4, v[199:200]
	v_fma_f64 v[18:19], v[18:19], v[44:45], v[31:32]
	v_mul_f64_e32 v[31:32], v[88:89], v[66:67]
	v_mul_f64_e32 v[43:44], v[174:175], v[50:51]
	v_fma_f64 v[33:34], v[68:69], v[160:161], -v[33:34]
	s_wait_dscnt 0x3
	v_mul_f64_e32 v[50:51], v[230:231], v[50:51]
	v_mul_f64_e32 v[66:67], v[6:7], v[62:63]
	v_fma_f64 v[16:17], v[16:17], v[68:69], v[46:47]
	v_mul_f64_e32 v[45:46], v[94:95], v[62:63]
	v_mul_f64_e32 v[62:63], v[4:5], v[58:59]
	;; [unrolled: 1-line block ×3, first 2 shown]
	v_fma_f64 v[70:71], v[80:81], v[98:99], -v[70:71]
	v_fma_f64 v[80:81], v[14:15], v[80:81], v[22:23]
	v_mul_f64_e32 v[14:15], v[90:91], v[54:55]
	v_mul_f64_e32 v[68:69], v[2:3], v[54:55]
	v_fma_f64 v[37:38], v[72:73], v[96:97], -v[37:38]
	v_fma_f64 v[54:55], v[12:13], v[72:73], v[74:75]
	v_fma_f64 v[72:73], v[76:77], v[102:103], -v[82:83]
	v_fma_f64 v[74:75], v[10:11], v[76:77], v[78:79]
	v_add_f64_e64 v[22:23], v[184:185], -v[140:141]
	v_add_co_u32 v194, vcc_lo, v145, v194
	v_fma_f64 v[39:40], v[84:85], v[100:101], -v[39:40]
	v_fma_f64 v[41:42], v[8:9], v[84:85], v[41:42]
	v_fma_f64 v[76:77], v[64:65], v[88:89], -v[86:87]
	s_wait_alu 0xfffd
	v_add_co_ci_u32_e32 v195, vcc_lo, v146, v195, vcc_lo
	v_mov_b32_e32 v225, v241
	v_lshlrev_b64_e32 v[200:201], 4, v[201:202]
	v_add_co_u32 v196, vcc_lo, v145, v196
	s_wait_alu 0xfffd
	v_add_co_ci_u32_e32 v197, vcc_lo, v146, v197, vcc_lo
	v_lshlrev_b64_e32 v[202:203], 4, v[212:213]
	v_add_co_u32 v162, vcc_lo, v145, v198
	s_wait_alu 0xfffd
	v_add_co_ci_u32_e32 v163, vcc_lo, v146, v199, vcc_lo
	v_lshlrev_b64_e32 v[212:213], 4, v[214:215]
	v_add_f64_e64 v[12:13], v[172:173], -v[18:19]
	v_fma_f64 v[64:65], v[0:1], v[64:65], v[31:32]
	v_fma_f64 v[82:83], v[48:49], v[230:231], -v[43:44]
	s_wait_dscnt 0x2
	v_add_f64_e64 v[10:11], v[134:135], -v[33:34]
	v_fma_f64 v[48:49], v[174:175], v[48:49], v[50:51]
	v_fma_f64 v[50:51], v[60:61], v[94:95], -v[66:67]
	v_add_f64_e64 v[8:9], v[114:115], -v[16:17]
	v_fma_f64 v[60:61], v[6:7], v[60:61], v[45:46]
	v_fma_f64 v[62:63], v[56:57], v[92:93], -v[62:63]
	v_fma_f64 v[56:57], v[4:5], v[56:57], v[58:59]
	s_wait_dscnt 0x1
	v_add_f64_e64 v[18:19], v[243:244], -v[28:29]
	v_add_f64_e64 v[16:17], v[170:171], -v[20:21]
	v_fma_f64 v[66:67], v[2:3], v[52:53], v[14:15]
	s_wait_dscnt 0x0
	v_add_f64_e64 v[14:15], v[245:246], -v[138:139]
	v_add_f64_e64 v[20:21], v[128:129], -v[35:36]
	;; [unrolled: 1-line block ×6, first 2 shown]
	v_mad_co_u64_u32 v[78:79], null, s9, v229, v[30:31]
	v_add_f64_e64 v[34:35], v[182:183], -v[39:40]
	v_add_f64_e64 v[32:33], v[118:119], -v[41:42]
	;; [unrolled: 1-line block ×8, first 2 shown]
	v_fma_f64 v[58:59], v[52:53], v[90:91], -v[68:69]
	v_fma_f64 v[74:75], v[184:185], 2.0, -v[22:23]
	v_add_f64_e64 v[42:43], v[136:137], -v[76:77]
	v_mov_b32_e32 v211, v78
	v_add_co_u32 v160, vcc_lo, v145, v200
	s_wait_alu 0xfffd
	v_add_co_ci_u32_e32 v161, vcc_lo, v146, v201, vcc_lo
	v_lshlrev_b64_e32 v[214:215], 4, v[218:219]
	v_add_co_u32 v190, vcc_lo, v145, v202
	v_add_f64_e64 v[40:41], v[130:131], -v[64:65]
	v_fma_f64 v[64:65], v[172:173], 2.0, -v[12:13]
	v_add_f64_e64 v[44:45], v[120:121], -v[48:49]
	v_add_f64_e64 v[46:47], v[150:151], -v[82:83]
	v_dual_mov_b32 v144, v240 :: v_dual_mov_b32 v227, v242
	v_add_f64_e64 v[48:49], v[112:113], -v[60:61]
	v_add_f64_e64 v[54:55], v[154:155], -v[62:63]
	v_fma_f64 v[62:63], v[134:135], 2.0, -v[10:11]
	v_fma_f64 v[60:61], v[114:115], 2.0, -v[8:9]
	v_add_f64_e64 v[52:53], v[110:111], -v[56:57]
	v_add_f64_e64 v[56:57], v[108:109], -v[66:67]
	v_fma_f64 v[66:67], v[245:246], 2.0, -v[14:15]
	v_fma_f64 v[70:71], v[243:244], 2.0, -v[18:19]
	;; [unrolled: 1-line block ×16, first 2 shown]
	s_wait_alu 0xfffd
	v_add_co_ci_u32_e32 v191, vcc_lo, v146, v203, vcc_lo
	v_lshlrev_b64_e32 v[218:219], 4, v[220:221]
	v_add_co_u32 v198, vcc_lo, v145, v212
	s_wait_alu 0xfffd
	v_add_co_ci_u32_e32 v199, vcc_lo, v146, v213, vcc_lo
	v_lshlrev_b64_e32 v[143:144], 4, v[143:144]
	v_add_co_u32 v200, vcc_lo, v145, v214
	;; [unrolled: 4-line block ×4, first 2 shown]
	s_wait_alu 0xfffd
	v_add_co_ci_u32_e32 v139, vcc_lo, v146, v144, vcc_lo
	v_add_co_u32 v140, vcc_lo, v145, v220
	s_wait_alu 0xfffd
	v_add_co_ci_u32_e32 v141, vcc_lo, v146, v221, vcc_lo
	v_add_co_u32 v122, vcc_lo, v145, v224
	s_wait_alu 0xfffd
	v_add_co_ci_u32_e32 v123, vcc_lo, v146, v225, vcc_lo
	s_clause 0x13
	global_store_b128 v[208:209], v[60:63], off
	global_store_b128 v[164:165], v[8:11], off
	;; [unrolled: 1-line block ×20, first 2 shown]
	scratch_load_b32 v13, off, off offset:8 th:TH_LOAD_LU ; 4-byte Folded Reload
	v_add_f64_e64 v[58:59], v[152:153], -v[58:59]
	v_fma_f64 v[102:103], v[136:137], 2.0, -v[42:43]
	v_fma_f64 v[100:101], v[130:131], 2.0, -v[40:41]
	;; [unrolled: 1-line block ×4, first 2 shown]
	v_mad_co_u64_u32 v[0:1], null, s9, v247, v[142:143]
	v_mad_co_u64_u32 v[1:2], null, s8, v206, 0
	v_lshlrev_b64_e32 v[104:105], 4, v[232:233]
	v_add_f64_e64 v[50:51], v[148:149], -v[50:51]
	v_lshlrev_b64_e32 v[3:4], 4, v[222:223]
	v_fma_f64 v[118:119], v[154:155], 2.0, -v[54:55]
	v_mov_b32_e32 v229, v0
	v_fma_f64 v[112:113], v[112:113], 2.0, -v[48:49]
	v_mov_b32_e32 v0, v2
	v_lshlrev_b64_e32 v[124:125], 4, v[210:211]
	v_lshrrev_b32_e32 v2, 5, v205
	v_add_co_u32 v126, vcc_lo, v145, v104
	s_delay_alu instid0(VALU_DEP_4)
	v_mad_co_u64_u32 v[9:10], null, s9, v206, v[0:1]
	s_wait_alu 0xfffd
	v_add_co_ci_u32_e32 v127, vcc_lo, v146, v105, vcc_lo
	v_add_co_u32 v5, vcc_lo, v145, v124
	v_mul_hi_u32 v0, 0x5b05b06, v2
	s_wait_alu 0xfffd
	v_add_co_ci_u32_e32 v6, vcc_lo, v146, v125, vcc_lo
	v_mov_b32_e32 v2, v9
	v_lshlrev_b64_e32 v[7:8], 4, v[228:229]
	v_add_co_u32 v3, vcc_lo, v145, v3
	s_wait_alu 0xfffd
	v_add_co_ci_u32_e32 v4, vcc_lo, v146, v4, vcc_lo
	v_mad_u32_u24 v9, 0x5a0, v0, v205
	s_delay_alu instid0(VALU_DEP_4)
	v_add_co_u32 v7, vcc_lo, v145, v7
	v_fma_f64 v[110:111], v[152:153], 2.0, -v[58:59]
	s_wait_alu 0xfffd
	v_add_co_ci_u32_e32 v8, vcc_lo, v146, v8, vcc_lo
	s_clause 0x3
	global_store_b128 v[126:127], v[100:103], off
	global_store_b128 v[5:6], v[40:43], off
	;; [unrolled: 1-line block ×4, first 2 shown]
	v_lshrrev_b32_e32 v7, 5, v204
	v_lshlrev_b64_e32 v[0:1], 4, v[1:2]
	v_mad_co_u64_u32 v[3:4], null, s8, v9, 0
	v_fma_f64 v[114:115], v[148:149], 2.0, -v[50:51]
	s_delay_alu instid0(VALU_DEP_4)
	v_mul_hi_u32 v12, 0x5b05b06, v7
	v_fma_f64 v[106:107], v[150:151], 2.0, -v[46:47]
	v_add_co_u32 v0, vcc_lo, v145, v0
	s_wait_alu 0xfffd
	v_add_co_ci_u32_e32 v1, vcc_lo, v146, v1, vcc_lo
	v_fma_f64 v[104:105], v[120:121], 2.0, -v[44:45]
	v_mad_u32_u24 v17, 0x5a0, v12, v204
	global_store_b128 v[0:1], v[116:119], off
	s_wait_loadcnt 0x0
	v_mad_co_u64_u32 v[10:11], null, s8, v13, 0
	s_delay_alu instid0(VALU_DEP_1) | instskip(NEXT) | instid1(VALU_DEP_1)
	v_dual_mov_b32 v2, v11 :: v_dual_add_nc_u32 v11, 0x5a0, v9
	v_mad_co_u64_u32 v[7:8], null, s9, v13, v[2:3]
	s_delay_alu instid0(VALU_DEP_2) | instskip(SKIP_1) | instid1(VALU_DEP_2)
	v_mad_co_u64_u32 v[5:6], null, s8, v11, 0
	v_mad_co_u64_u32 v[12:13], null, s8, v17, 0
	v_mov_b32_e32 v2, v6
	s_delay_alu instid0(VALU_DEP_3) | instskip(NEXT) | instid1(VALU_DEP_3)
	v_mad_co_u64_u32 v[8:9], null, s9, v9, v[4:5]
	v_dual_mov_b32 v0, v13 :: v_dual_add_nc_u32 v9, 0x5a0, v17
	s_delay_alu instid0(VALU_DEP_3) | instskip(SKIP_1) | instid1(VALU_DEP_3)
	v_mad_co_u64_u32 v[14:15], null, s9, v11, v[2:3]
	v_mov_b32_e32 v11, v7
	v_mad_co_u64_u32 v[15:16], null, s8, v9, 0
	v_mov_b32_e32 v4, v8
	s_delay_alu instid0(VALU_DEP_3) | instskip(SKIP_1) | instid1(VALU_DEP_2)
	v_lshlrev_b64_e32 v[1:2], 4, v[10:11]
	v_mov_b32_e32 v6, v14
	v_mad_co_u64_u32 v[7:8], null, s9, v17, v[0:1]
	v_mov_b32_e32 v0, v16
	v_add_co_u32 v1, vcc_lo, v145, v1
	s_delay_alu instid0(VALU_DEP_4)
	v_lshlrev_b64_e32 v[5:6], 4, v[5:6]
	s_wait_alu 0xfffd
	v_add_co_ci_u32_e32 v2, vcc_lo, v146, v2, vcc_lo
	v_mov_b32_e32 v13, v7
	v_mad_co_u64_u32 v[8:9], null, s9, v9, v[0:1]
	v_lshlrev_b64_e32 v[3:4], 4, v[3:4]
	s_delay_alu instid0(VALU_DEP_3) | instskip(NEXT) | instid1(VALU_DEP_3)
	v_lshlrev_b64_e32 v[9:10], 4, v[12:13]
	v_mov_b32_e32 v16, v8
	s_delay_alu instid0(VALU_DEP_3) | instskip(SKIP_1) | instid1(VALU_DEP_4)
	v_add_co_u32 v3, vcc_lo, v145, v3
	s_wait_alu 0xfffd
	v_add_co_ci_u32_e32 v4, vcc_lo, v146, v4, vcc_lo
	v_add_co_u32 v5, vcc_lo, v145, v5
	v_lshlrev_b64_e32 v[7:8], 4, v[15:16]
	s_wait_alu 0xfffd
	v_add_co_ci_u32_e32 v6, vcc_lo, v146, v6, vcc_lo
	v_add_co_u32 v9, vcc_lo, v145, v9
	s_wait_alu 0xfffd
	v_add_co_ci_u32_e32 v10, vcc_lo, v146, v10, vcc_lo
	v_add_co_u32 v7, vcc_lo, v145, v7
	s_wait_alu 0xfffd
	v_add_co_ci_u32_e32 v8, vcc_lo, v146, v8, vcc_lo
	s_clause 0x4
	global_store_b128 v[1:2], v[52:55], off
	global_store_b128 v[3:4], v[112:115], off
	;; [unrolled: 1-line block ×5, first 2 shown]
.LBB0_15:
	s_nop 0
	s_sendmsg sendmsg(MSG_DEALLOC_VGPRS)
	s_endpgm
	.section	.rodata,"a",@progbits
	.p2align	6, 0x0
	.amdhsa_kernel fft_rtc_back_len2880_factors_10_6_6_2_2_2_wgs_96_tpt_96_halfLds_dp_ip_CI_sbrr_dirReg
		.amdhsa_group_segment_fixed_size 0
		.amdhsa_private_segment_fixed_size 24
		.amdhsa_kernarg_size 88
		.amdhsa_user_sgpr_count 2
		.amdhsa_user_sgpr_dispatch_ptr 0
		.amdhsa_user_sgpr_queue_ptr 0
		.amdhsa_user_sgpr_kernarg_segment_ptr 1
		.amdhsa_user_sgpr_dispatch_id 0
		.amdhsa_user_sgpr_private_segment_size 0
		.amdhsa_wavefront_size32 1
		.amdhsa_uses_dynamic_stack 0
		.amdhsa_enable_private_segment 1
		.amdhsa_system_sgpr_workgroup_id_x 1
		.amdhsa_system_sgpr_workgroup_id_y 0
		.amdhsa_system_sgpr_workgroup_id_z 0
		.amdhsa_system_sgpr_workgroup_info 0
		.amdhsa_system_vgpr_workitem_id 0
		.amdhsa_next_free_vgpr 256
		.amdhsa_next_free_sgpr 35
		.amdhsa_reserve_vcc 1
		.amdhsa_float_round_mode_32 0
		.amdhsa_float_round_mode_16_64 0
		.amdhsa_float_denorm_mode_32 3
		.amdhsa_float_denorm_mode_16_64 3
		.amdhsa_fp16_overflow 0
		.amdhsa_workgroup_processor_mode 1
		.amdhsa_memory_ordered 1
		.amdhsa_forward_progress 0
		.amdhsa_round_robin_scheduling 0
		.amdhsa_exception_fp_ieee_invalid_op 0
		.amdhsa_exception_fp_denorm_src 0
		.amdhsa_exception_fp_ieee_div_zero 0
		.amdhsa_exception_fp_ieee_overflow 0
		.amdhsa_exception_fp_ieee_underflow 0
		.amdhsa_exception_fp_ieee_inexact 0
		.amdhsa_exception_int_div_zero 0
	.end_amdhsa_kernel
	.text
.Lfunc_end0:
	.size	fft_rtc_back_len2880_factors_10_6_6_2_2_2_wgs_96_tpt_96_halfLds_dp_ip_CI_sbrr_dirReg, .Lfunc_end0-fft_rtc_back_len2880_factors_10_6_6_2_2_2_wgs_96_tpt_96_halfLds_dp_ip_CI_sbrr_dirReg
                                        ; -- End function
	.section	.AMDGPU.csdata,"",@progbits
; Kernel info:
; codeLenInByte = 24648
; NumSgprs: 37
; NumVgprs: 256
; ScratchSize: 24
; MemoryBound: 1
; FloatMode: 240
; IeeeMode: 1
; LDSByteSize: 0 bytes/workgroup (compile time only)
; SGPRBlocks: 4
; VGPRBlocks: 31
; NumSGPRsForWavesPerEU: 37
; NumVGPRsForWavesPerEU: 256
; Occupancy: 5
; WaveLimiterHint : 1
; COMPUTE_PGM_RSRC2:SCRATCH_EN: 1
; COMPUTE_PGM_RSRC2:USER_SGPR: 2
; COMPUTE_PGM_RSRC2:TRAP_HANDLER: 0
; COMPUTE_PGM_RSRC2:TGID_X_EN: 1
; COMPUTE_PGM_RSRC2:TGID_Y_EN: 0
; COMPUTE_PGM_RSRC2:TGID_Z_EN: 0
; COMPUTE_PGM_RSRC2:TIDIG_COMP_CNT: 0
	.text
	.p2alignl 7, 3214868480
	.fill 96, 4, 3214868480
	.type	__hip_cuid_f49a963af10cffb5,@object ; @__hip_cuid_f49a963af10cffb5
	.section	.bss,"aw",@nobits
	.globl	__hip_cuid_f49a963af10cffb5
__hip_cuid_f49a963af10cffb5:
	.byte	0                               ; 0x0
	.size	__hip_cuid_f49a963af10cffb5, 1

	.ident	"AMD clang version 19.0.0git (https://github.com/RadeonOpenCompute/llvm-project roc-6.4.0 25133 c7fe45cf4b819c5991fe208aaa96edf142730f1d)"
	.section	".note.GNU-stack","",@progbits
	.addrsig
	.addrsig_sym __hip_cuid_f49a963af10cffb5
	.amdgpu_metadata
---
amdhsa.kernels:
  - .args:
      - .actual_access:  read_only
        .address_space:  global
        .offset:         0
        .size:           8
        .value_kind:     global_buffer
      - .offset:         8
        .size:           8
        .value_kind:     by_value
      - .actual_access:  read_only
        .address_space:  global
        .offset:         16
        .size:           8
        .value_kind:     global_buffer
      - .actual_access:  read_only
        .address_space:  global
        .offset:         24
        .size:           8
        .value_kind:     global_buffer
      - .offset:         32
        .size:           8
        .value_kind:     by_value
      - .actual_access:  read_only
        .address_space:  global
        .offset:         40
        .size:           8
        .value_kind:     global_buffer
      - .actual_access:  read_only
        .address_space:  global
        .offset:         48
        .size:           8
        .value_kind:     global_buffer
      - .offset:         56
        .size:           4
        .value_kind:     by_value
      - .actual_access:  read_only
        .address_space:  global
        .offset:         64
        .size:           8
        .value_kind:     global_buffer
      - .actual_access:  read_only
        .address_space:  global
        .offset:         72
        .size:           8
        .value_kind:     global_buffer
      - .address_space:  global
        .offset:         80
        .size:           8
        .value_kind:     global_buffer
    .group_segment_fixed_size: 0
    .kernarg_segment_align: 8
    .kernarg_segment_size: 88
    .language:       OpenCL C
    .language_version:
      - 2
      - 0
    .max_flat_workgroup_size: 96
    .name:           fft_rtc_back_len2880_factors_10_6_6_2_2_2_wgs_96_tpt_96_halfLds_dp_ip_CI_sbrr_dirReg
    .private_segment_fixed_size: 24
    .sgpr_count:     37
    .sgpr_spill_count: 0
    .symbol:         fft_rtc_back_len2880_factors_10_6_6_2_2_2_wgs_96_tpt_96_halfLds_dp_ip_CI_sbrr_dirReg.kd
    .uniform_work_group_size: 1
    .uses_dynamic_stack: false
    .vgpr_count:     256
    .vgpr_spill_count: 5
    .wavefront_size: 32
    .workgroup_processor_mode: 1
amdhsa.target:   amdgcn-amd-amdhsa--gfx1201
amdhsa.version:
  - 1
  - 2
...

	.end_amdgpu_metadata
